;; amdgpu-corpus repo=ROCm/rocFFT kind=compiled arch=gfx906 opt=O3
	.text
	.amdgcn_target "amdgcn-amd-amdhsa--gfx906"
	.amdhsa_code_object_version 6
	.protected	fft_rtc_fwd_len336_factors_7_16_3_wgs_126_tpt_21_dim2_dp_op_CI_CI_sbcc_twdbase8_3step_dirReg_intrinsicReadWrite ; -- Begin function fft_rtc_fwd_len336_factors_7_16_3_wgs_126_tpt_21_dim2_dp_op_CI_CI_sbcc_twdbase8_3step_dirReg_intrinsicReadWrite
	.globl	fft_rtc_fwd_len336_factors_7_16_3_wgs_126_tpt_21_dim2_dp_op_CI_CI_sbcc_twdbase8_3step_dirReg_intrinsicReadWrite
	.p2align	8
	.type	fft_rtc_fwd_len336_factors_7_16_3_wgs_126_tpt_21_dim2_dp_op_CI_CI_sbcc_twdbase8_3step_dirReg_intrinsicReadWrite,@function
fft_rtc_fwd_len336_factors_7_16_3_wgs_126_tpt_21_dim2_dp_op_CI_CI_sbcc_twdbase8_3step_dirReg_intrinsicReadWrite: ; @fft_rtc_fwd_len336_factors_7_16_3_wgs_126_tpt_21_dim2_dp_op_CI_CI_sbcc_twdbase8_3step_dirReg_intrinsicReadWrite
; %bb.0:
	s_load_dwordx4 s[0:3], s[4:5], 0x10
	s_load_dwordx2 s[16:17], s[4:5], 0x0
	s_mov_b32 s7, 0
	s_waitcnt lgkmcnt(0)
	s_load_dwordx2 s[0:1], s[0:1], 0x8
	s_nop 0
	s_load_dwordx2 s[8:9], s[4:5], 0x58
	s_load_dwordx2 s[20:21], s[4:5], 0x20
	;; [unrolled: 1-line block ×3, first 2 shown]
	s_waitcnt lgkmcnt(0)
	s_add_u32 s10, s0, -1
	s_addc_u32 s11, s1, -1
	s_add_u32 s13, 0, 0xaaa80000
	s_addc_u32 s14, 0, 0xaa
	s_add_i32 s14, s14, 0x2aaaaa00
	s_mul_hi_u32 s22, s13, -6
	s_sub_i32 s22, s22, s13
	s_mul_i32 s23, s14, -6
	s_mul_i32 s15, s13, -6
	s_add_i32 s22, s22, s23
	s_mul_hi_u32 s18, s14, s15
	s_mul_i32 s19, s14, s15
	s_mul_i32 s24, s13, s22
	s_mul_hi_u32 s15, s13, s15
	s_mul_hi_u32 s23, s13, s22
	s_add_u32 s15, s15, s24
	s_addc_u32 s23, 0, s23
	s_add_u32 s15, s15, s19
	s_mul_hi_u32 s24, s14, s22
	s_addc_u32 s15, s23, s18
	s_addc_u32 s18, s24, 0
	s_mul_i32 s19, s14, s22
	s_add_u32 s15, s15, s19
	v_mov_b32_e32 v1, s15
	s_addc_u32 s18, 0, s18
	v_add_co_u32_e32 v1, vcc, s13, v1
	s_cmp_lg_u64 vcc, 0
	s_addc_u32 s13, s14, s18
	v_readfirstlane_b32 s18, v1
	s_mul_i32 s15, s10, s13
	s_mul_hi_u32 s19, s10, s18
	s_mul_hi_u32 s14, s10, s13
	s_add_u32 s15, s19, s15
	s_addc_u32 s14, 0, s14
	s_mul_hi_u32 s22, s11, s18
	s_mul_i32 s18, s11, s18
	s_add_u32 s15, s15, s18
	s_mul_hi_u32 s19, s11, s13
	s_addc_u32 s14, s14, s22
	s_addc_u32 s15, s19, 0
	s_mul_i32 s13, s11, s13
	s_add_u32 s13, s14, s13
	s_addc_u32 s14, 0, s15
	s_add_u32 s15, s13, 1
	s_addc_u32 s18, s14, 0
	s_add_u32 s19, s13, 2
	s_mul_i32 s23, s14, 6
	s_mul_hi_u32 s24, s13, 6
	s_addc_u32 s22, s14, 0
	s_add_i32 s24, s24, s23
	s_mul_i32 s23, s13, 6
	v_mov_b32_e32 v1, s23
	v_sub_co_u32_e32 v1, vcc, s10, v1
	s_cmp_lg_u64 vcc, 0
	s_subb_u32 s10, s11, s24
	v_subrev_co_u32_e32 v2, vcc, 6, v1
	s_cmp_lg_u64 vcc, 0
	s_subb_u32 s11, s10, 0
	v_readfirstlane_b32 s23, v2
	s_cmp_gt_u32 s23, 5
	s_cselect_b32 s23, -1, 0
	s_cmp_eq_u32 s11, 0
	s_cselect_b32 s11, s23, -1
	s_cmp_lg_u32 s11, 0
	s_cselect_b32 s11, s19, s15
	s_cselect_b32 s15, s22, s18
	v_readfirstlane_b32 s18, v1
	s_cmp_gt_u32 s18, 5
	s_cselect_b32 s18, -1, 0
	s_cmp_eq_u32 s10, 0
	s_cselect_b32 s10, s18, -1
	s_cmp_lg_u32 s10, 0
	s_cselect_b32 s10, s11, s13
	s_cselect_b32 s14, s15, s14
	s_add_u32 s10, s10, 1
	s_addc_u32 s11, s14, 0
	v_mov_b32_e32 v1, s10
	v_mov_b32_e32 v2, s11
	v_cmp_lt_u64_e32 vcc, s[6:7], v[1:2]
	s_mov_b64 s[18:19], 0
	s_cbranch_vccnz .LBB0_2
; %bb.1:
	v_cvt_f32_u32_e32 v1, s10
	s_sub_i32 s7, 0, s10
	v_rcp_iflag_f32_e32 v1, v1
	v_mul_f32_e32 v1, 0x4f7ffffe, v1
	v_cvt_u32_f32_e32 v1, v1
	v_readfirstlane_b32 s13, v1
	s_mul_i32 s7, s7, s13
	s_mul_hi_u32 s7, s13, s7
	s_add_i32 s13, s13, s7
	s_mul_hi_u32 s7, s6, s13
	s_mul_i32 s14, s7, s10
	s_sub_i32 s14, s6, s14
	s_add_i32 s13, s7, 1
	s_sub_i32 s15, s14, s10
	s_cmp_ge_u32 s14, s10
	s_cselect_b32 s7, s13, s7
	s_cselect_b32 s14, s15, s14
	s_add_i32 s13, s7, 1
	s_cmp_ge_u32 s14, s10
	s_cselect_b32 s18, s13, s7
.LBB0_2:
	s_mul_i32 s7, s18, s11
	s_mul_hi_u32 s11, s18, s10
	s_load_dwordx4 s[24:27], s[2:3], 0x8
	s_add_i32 s11, s11, s7
	s_mul_i32 s7, s18, s10
	s_sub_u32 s6, s6, s7
	v_mul_u32_u24_e32 v1, 0x2aab, v0
	s_subb_u32 s7, 0, s11
	v_lshrrev_b32_e32 v75, 16, v1
	s_mul_i32 s7, s7, 6
	s_mul_hi_u32 s2, s6, 6
	s_mul_i32 s19, s6, 6
	v_mul_lo_u16_e32 v1, 6, v75
	s_add_i32 s3, s2, s7
	s_waitcnt lgkmcnt(0)
	s_mul_i32 s2, s19, s24
	s_mul_i32 s6, s26, s18
	v_sub_u16_e32 v91, v0, v1
	s_add_i32 s6, s6, s2
	v_mov_b32_e32 v1, s3
	v_add_co_u32_e32 v73, vcc, s19, v91
	v_or_b32_e32 v6, 0x60, v75
	v_addc_co_u32_e32 v74, vcc, 0, v1, vcc
	s_add_u32 s2, s19, 6
	v_mul_lo_u32 v29, s24, v91
	v_mov_b32_e32 v2, s1
	v_mul_lo_u32 v9, s12, v6
	s_addc_u32 s3, s3, 0
	v_mov_b32_e32 v1, s0
	v_cmp_le_u64_e32 vcc, s[2:3], v[1:2]
	v_cmp_gt_u64_e64 s[0:1], s[0:1], v[73:74]
	v_add_u32_e32 v1, 48, v75
	v_or_b32_e32 v2, 0x120, v75
	v_cndmask_b32_e64 v90, 0, 1, s[0:1]
	v_mul_lo_u32 v1, s12, v1
	v_mul_lo_u32 v5, s12, v2
	s_or_b64 s[0:1], vcc, s[0:1]
	v_add_u32_e32 v7, 0x90, v75
	v_add_u32_e32 v8, 0xf0, v75
	v_add_lshl_u32 v9, v29, v9, 4
	v_mul_lo_u32 v10, s12, v7
	v_mul_lo_u32 v11, s12, v8
	v_cndmask_b32_e64 v17, -1, v9, s[0:1]
	v_or_b32_e32 v9, 0xc0, v75
	v_mul_lo_u32 v19, s12, v9
	v_add_lshl_u32 v1, v29, v1, 4
	v_add_lshl_u32 v5, v29, v5, 4
	s_lshl_b32 s13, s6, 4
	s_mov_b32 s11, 0x20000
	s_mov_b32 s10, -2
	v_cndmask_b32_e64 v1, -1, v1, s[0:1]
	v_cndmask_b32_e64 v5, -1, v5, s[0:1]
	v_add_lshl_u32 v10, v29, v10, 4
	v_add_lshl_u32 v11, v29, v11, 4
	buffer_load_dwordx4 v[1:4], v1, s[8:11], s13 offen
	v_cndmask_b32_e64 v18, -1, v10, s[0:1]
	buffer_load_dwordx4 v[5:8], v5, s[8:11], s13 offen
	v_cndmask_b32_e64 v25, -1, v11, s[0:1]
	buffer_load_dwordx4 v[13:16], v17, s[8:11], s13 offen
	buffer_load_dwordx4 v[9:12], v18, s[8:11], s13 offen
	v_add_lshl_u32 v17, v29, v19, 4
	v_cndmask_b32_e64 v26, -1, v17, s[0:1]
	buffer_load_dwordx4 v[21:24], v25, s[8:11], s13 offen
	buffer_load_dwordx4 v[17:20], v26, s[8:11], s13 offen
	v_add_u32_e32 v25, 0x45, v75
	v_add_u32_e32 v26, 0x75, v75
	v_mul_lo_u32 v25, s12, v25
	v_mul_lo_u32 v26, s12, v26
	v_add_u32_e32 v28, 0x105, v75
	v_mul_lo_u32 v28, s12, v28
	v_add_u32_e32 v27, 0x135, v75
	v_add_lshl_u32 v25, v29, v25, 4
	v_add_lshl_u32 v26, v29, v26, 4
	v_mul_lo_u32 v27, s12, v27
	v_cndmask_b32_e64 v25, -1, v25, s[0:1]
	v_cndmask_b32_e64 v26, -1, v26, s[0:1]
	buffer_load_dwordx4 v[30:33], v25, s[8:11], s13 offen
	buffer_load_dwordx4 v[34:37], v26, s[8:11], s13 offen
	v_add_lshl_u32 v25, v29, v28, 4
	v_add_u32_e32 v26, 0xa5, v75
	v_add_u32_e32 v28, 0xd5, v75
	v_mul_lo_u32 v26, s12, v26
	v_mul_lo_u32 v28, s12, v28
	v_add_lshl_u32 v27, v29, v27, 4
	v_cndmask_b32_e64 v27, -1, v27, s[0:1]
	v_cndmask_b32_e64 v25, -1, v25, s[0:1]
	buffer_load_dwordx4 v[38:41], v27, s[8:11], s13 offen
	buffer_load_dwordx4 v[42:45], v25, s[8:11], s13 offen
	v_add_lshl_u32 v25, v29, v26, 4
	v_add_lshl_u32 v26, v29, v28, 4
	v_cndmask_b32_e64 v25, -1, v25, s[0:1]
	v_cndmask_b32_e64 v26, -1, v26, s[0:1]
	buffer_load_dwordx4 v[46:49], v25, s[8:11], s13 offen
	buffer_load_dwordx4 v[50:53], v26, s[8:11], s13 offen
	v_add_u32_e32 v26, 0x5a, v75
	v_add_u32_e32 v55, 0x8a, v75
	v_cmp_lt_u32_e64 s[6:7], 35, v0
	v_cmp_gt_u32_e64 s[2:3], 36, v0
	v_mul_lo_u32 v26, s12, v26
	v_add_u32_e32 v27, 0x14a, v75
	v_mul_lo_u32 v58, s12, v55
	v_add_u32_e32 v55, 0x11a, v75
	v_cndmask_b32_e64 v25, 0, 1, s[2:3]
	s_or_b64 s[6:7], s[6:7], vcc
	v_mul_lo_u32 v27, s12, v27
	v_mul_lo_u32 v59, s12, v55
	v_cndmask_b32_e64 v25, v90, v25, s[6:7]
	v_and_b32_e32 v25, 1, v25
	v_mul_lo_u32 v67, s12, v75
	v_add_lshl_u32 v26, v29, v26, 4
	v_cmp_eq_u32_e64 s[6:7], 1, v25
	v_add_lshl_u32 v58, v29, v58, 4
	v_cndmask_b32_e64 v25, -1, v26, s[6:7]
	v_add_lshl_u32 v26, v29, v27, 4
	v_cndmask_b32_e64 v66, -1, v58, s[6:7]
	;; [unrolled: 2-line block ×3, first 2 shown]
	v_cndmask_b32_e64 v68, -1, v58, s[6:7]
	buffer_load_dwordx4 v[25:28], v25, s[8:11], s13 offen
	v_add_u32_e32 v92, 21, v75
	buffer_load_dwordx4 v[54:57], v54, s[8:11], s13 offen
	s_nop 0
	buffer_load_dwordx4 v[58:61], v68, s[8:11], s13 offen
	buffer_load_dwordx4 v[62:65], v66, s[8:11], s13 offen
	v_add_lshl_u32 v66, v29, v67, 4
	v_cndmask_b32_e64 v66, -1, v66, s[0:1]
	buffer_load_dwordx4 v[66:69], v66, s[8:11], s13 offen
	v_mul_lo_u32 v70, s12, v92
	v_add_u32_e32 v72, 0xba, v75
	v_mul_lo_u32 v72, s12, v72
	v_add_u32_e32 v74, 0xea, v75
	v_add_lshl_u32 v70, v29, v70, 4
	v_cndmask_b32_e64 v70, -1, v70, s[0:1]
	buffer_load_dwordx4 v[76:79], v70, s[8:11], s13 offen
	v_mul_lo_u32 v74, s12, v74
	v_add_u32_e32 v93, 42, v75
	v_add_lshl_u32 v72, v29, v72, 4
	v_cndmask_b32_e64 v72, -1, v72, s[6:7]
	v_add_lshl_u32 v74, v29, v74, 4
	v_cndmask_b32_e64 v74, -1, v74, s[6:7]
	buffer_load_dwordx4 v[80:83], v72, s[8:11], s13 offen
	buffer_load_dwordx4 v[84:87], v74, s[8:11], s13 offen
	s_mov_b32 s24, 0xe976ee23
	s_mov_b32 s25, 0xbfe11646
	s_waitcnt vmcnt(18)
	v_add_f64 v[70:71], v[1:2], v[5:6]
	v_add_f64 v[88:89], v[3:4], v[7:8]
	v_add_f64 v[94:95], v[1:2], -v[5:6]
	v_add_f64 v[96:97], v[3:4], -v[7:8]
	s_waitcnt vmcnt(15)
	v_add_f64 v[98:99], v[13:14], v[21:22]
	v_add_f64 v[100:101], v[15:16], v[23:24]
	v_add_f64 v[13:14], v[13:14], -v[21:22]
	s_waitcnt vmcnt(14)
	v_add_f64 v[21:22], v[9:10], v[17:18]
	v_add_f64 v[15:16], v[15:16], -v[23:24]
	v_add_f64 v[23:24], v[11:12], v[19:20]
	v_add_f64 v[17:18], v[17:18], -v[9:10]
	v_add_f64 v[19:20], v[19:20], -v[11:12]
	v_add_f64 v[1:2], v[98:99], v[70:71]
	v_add_f64 v[3:4], v[100:101], v[88:89]
	v_mul_lo_u32 v5, s12, v93
	s_mov_b32 s14, 0x36b3c0b5
	s_mov_b32 s30, 0x37e14327
	;; [unrolled: 1-line block ×5, first 2 shown]
	v_add_f64 v[9:10], v[21:22], v[1:2]
	v_add_f64 v[11:12], v[23:24], v[3:4]
	v_add_lshl_u32 v1, v29, v5, 4
	v_cndmask_b32_e64 v1, -1, v1, s[6:7]
	buffer_load_dwordx4 v[1:4], v1, s[8:11], s13 offen
	s_mov_b32 s6, 0xaaaaaaaa
	s_waitcnt vmcnt(12)
	v_add_f64 v[102:103], v[30:31], v[38:39]
	v_add_f64 v[104:105], v[32:33], v[40:41]
	v_add_f64 v[38:39], v[30:31], -v[38:39]
	v_add_f64 v[40:41], v[32:33], -v[40:41]
	s_waitcnt vmcnt(11)
	v_add_f64 v[106:107], v[34:35], v[42:43]
	v_add_f64 v[33:34], v[34:35], -v[42:43]
	s_waitcnt vmcnt(9)
	v_add_f64 v[42:43], v[46:47], v[50:51]
	v_add_f64 v[46:47], v[50:51], -v[46:47]
	v_add_f64 v[29:30], v[17:18], v[13:14]
	v_add_f64 v[31:32], v[19:20], v[15:16]
	s_mov_b32 s8, 0x429ad128
	s_mov_b32 s7, 0xbff2aaaa
	s_mov_b32 s9, 0x3febfeb5
	v_add_f64 v[108:109], v[36:37], v[44:45]
	v_add_f64 v[35:36], v[36:37], -v[44:45]
	v_add_f64 v[44:45], v[48:49], v[52:53]
	v_add_f64 v[48:49], v[52:53], -v[48:49]
	v_add_f64 v[52:53], v[100:101], -v[88:89]
	s_mov_b32 s12, 0x5476071b
	s_mov_b32 s13, 0x3fe77f67
	;; [unrolled: 1-line block ×7, first 2 shown]
	v_add_f64 v[29:30], v[29:30], v[94:95]
	v_add_f64 v[31:32], v[31:32], v[96:97]
	s_mov_b32 s10, 0x37c3f68c
	s_mov_b32 s11, 0x3fdc38aa
	s_movk_i32 s33, 0x2a0
	s_waitcnt vmcnt(7)
	v_add_f64 v[110:111], v[27:28], v[56:57]
	v_add_f64 v[114:115], v[27:28], -v[56:57]
	v_add_f64 v[56:57], v[17:18], -v[13:14]
	v_add_f64 v[50:51], v[25:26], v[54:55]
	s_waitcnt vmcnt(4)
	v_add_f64 v[5:6], v[66:67], v[9:10]
	v_add_f64 v[66:67], v[19:20], -v[15:16]
	v_add_f64 v[112:113], v[25:26], -v[54:55]
	v_add_f64 v[7:8], v[68:69], v[11:12]
	v_add_f64 v[27:28], v[21:22], -v[98:99]
	v_add_f64 v[54:55], v[23:24], -v[100:101]
	;; [unrolled: 1-line block ×4, first 2 shown]
	v_mul_f64 v[56:57], v[56:57], s[24:25]
	v_mul_f64 v[66:67], v[66:67], s[24:25]
	v_add_f64 v[21:22], v[70:71], -v[21:22]
	v_add_f64 v[23:24], v[88:89], -v[23:24]
	;; [unrolled: 1-line block ×3, first 2 shown]
	v_fma_f64 v[68:69], v[9:10], s[6:7], v[5:6]
	v_fma_f64 v[98:99], v[11:12], s[6:7], v[7:8]
	v_mul_f64 v[9:10], v[27:28], s[14:15]
	v_mul_f64 v[11:12], v[54:55], s[14:15]
	v_fma_f64 v[100:101], v[15:16], s[8:9], -v[66:67]
	v_fma_f64 v[120:121], v[13:14], s[8:9], -v[56:57]
	v_mul_f64 v[21:22], v[21:22], s[30:31]
	v_mul_f64 v[23:24], v[23:24], s[30:31]
	v_add_f64 v[17:18], v[94:95], -v[17:18]
	v_add_f64 v[19:20], v[96:97], -v[19:20]
	v_mul_f64 v[13:14], v[13:14], s[8:9]
	v_mul_f64 v[15:16], v[15:16], s[8:9]
	v_fma_f64 v[9:10], v[25:26], s[12:13], -v[9:10]
	v_fma_f64 v[11:12], v[52:53], s[12:13], -v[11:12]
	;; [unrolled: 1-line block ×4, first 2 shown]
	v_fma_f64 v[21:22], v[27:28], s[14:15], v[21:22]
	v_fma_f64 v[23:24], v[54:55], s[14:15], v[23:24]
	v_fma_f64 v[13:14], v[17:18], s[28:29], -v[13:14]
	v_fma_f64 v[15:16], v[19:20], s[28:29], -v[15:16]
	v_fma_f64 v[19:20], v[19:20], s[22:23], v[66:67]
	v_fma_f64 v[17:18], v[17:18], s[22:23], v[56:57]
	v_add_f64 v[116:117], v[62:63], v[58:59]
	v_add_f64 v[122:123], v[62:63], -v[58:59]
	v_add_f64 v[58:59], v[9:10], v[68:69]
	v_fma_f64 v[62:63], v[31:32], s[10:11], v[100:101]
	v_add_f64 v[25:26], v[25:26], v[68:69]
	v_add_f64 v[27:28], v[52:53], v[98:99]
	v_fma_f64 v[52:53], v[31:32], s[10:11], v[15:16]
	v_fma_f64 v[54:55], v[29:30], s[10:11], v[13:14]
	v_add_f64 v[56:57], v[21:22], v[68:69]
	v_add_f64 v[66:67], v[23:24], v[98:99]
	v_fma_f64 v[31:32], v[31:32], s[10:11], v[19:20]
	v_fma_f64 v[68:69], v[29:30], s[10:11], v[17:18]
	v_add_f64 v[118:119], v[64:65], v[60:61]
	v_add_f64 v[124:125], v[64:65], -v[60:61]
	v_add_f64 v[60:61], v[11:12], v[98:99]
	v_fma_f64 v[64:65], v[29:30], s[10:11], v[120:121]
	v_add_f64 v[17:18], v[52:53], v[25:26]
	v_add_f64 v[19:20], v[27:28], -v[54:55]
	v_add_f64 v[21:22], v[25:26], -v[52:53]
	v_add_f64 v[23:24], v[54:55], v[27:28]
	v_add_f64 v[25:26], v[31:32], v[56:57]
	v_add_f64 v[27:28], v[66:67], -v[68:69]
	v_add_f64 v[9:10], v[58:59], -v[62:63]
	v_add_f64 v[11:12], v[64:65], v[60:61]
	;; [unrolled: 4-line block ×3, first 2 shown]
	v_mad_u32_u24 v52, v75, s33, 0
	v_lshlrev_b32_e32 v53, 4, v91
	v_add_u32_e32 v37, v52, v53
	v_add_f64 v[56:57], v[108:109], v[104:105]
	ds_write_b128 v37, v[5:8]
	ds_write_b128 v37, v[25:28] offset:96
	ds_write_b128 v37, v[17:20] offset:192
	;; [unrolled: 1-line block ×6, first 2 shown]
	v_add_f64 v[11:12], v[42:43], -v[106:107]
	v_add_f64 v[19:20], v[102:103], -v[42:43]
	v_add_f64 v[54:55], v[106:107], v[102:103]
	v_add_f64 v[9:10], v[106:107], -v[102:103]
	v_add_f64 v[13:14], v[46:47], v[33:34]
	v_add_f64 v[56:57], v[44:45], v[56:57]
	v_add_f64 v[17:18], v[44:45], -v[108:109]
	v_add_f64 v[23:24], v[104:105], -v[44:45]
	;; [unrolled: 1-line block ×4, first 2 shown]
	v_mul_f64 v[31:32], v[11:12], s[14:15]
	v_mul_f64 v[19:20], v[19:20], s[30:31]
	v_add_f64 v[33:34], v[48:49], -v[35:36]
	v_add_f64 v[54:55], v[42:43], v[54:55]
	s_waitcnt vmcnt(3)
	v_add_f64 v[7:8], v[78:79], v[56:57]
	v_add_f64 v[15:16], v[108:109], -v[104:105]
	v_add_f64 v[21:22], v[48:49], v[35:36]
	v_add_f64 v[13:14], v[13:14], v[38:39]
	v_add_f64 v[29:30], v[38:39], -v[46:47]
	v_add_f64 v[35:36], v[35:36], -v[40:41]
	v_mul_f64 v[37:38], v[17:18], s[14:15]
	v_mul_f64 v[23:24], v[23:24], s[30:31]
	v_fma_f64 v[31:32], v[9:10], s[12:13], -v[31:32]
	v_fma_f64 v[9:10], v[9:10], s[26:27], -v[19:20]
	v_fma_f64 v[11:12], v[11:12], s[14:15], v[19:20]
	v_mul_f64 v[19:20], v[33:34], s[24:25]
	v_add_f64 v[5:6], v[76:77], v[54:55]
	v_add_f64 v[21:22], v[21:22], v[40:41]
	v_add_f64 v[39:40], v[40:41], -v[48:49]
	v_fma_f64 v[33:34], v[15:16], s[12:13], -v[37:38]
	v_mul_f64 v[37:38], v[35:36], s[8:9]
	v_mul_f64 v[25:26], v[25:26], s[24:25]
	v_fma_f64 v[15:16], v[15:16], s[26:27], -v[23:24]
	v_mul_f64 v[43:44], v[27:28], s[8:9]
	v_fma_f64 v[17:18], v[17:18], s[14:15], v[23:24]
	v_fma_f64 v[23:24], v[35:36], s[8:9], -v[19:20]
	v_fma_f64 v[35:36], v[56:57], s[6:7], v[7:8]
	s_waitcnt vmcnt(1)
	v_add_f64 v[120:121], v[82:83], v[86:87]
	v_fma_f64 v[41:42], v[54:55], s[6:7], v[5:6]
	v_fma_f64 v[37:38], v[39:40], s[28:29], -v[37:38]
	v_fma_f64 v[27:28], v[27:28], s[8:9], -v[25:26]
	v_fma_f64 v[19:20], v[39:40], s[22:23], v[19:20]
	v_fma_f64 v[39:40], v[29:30], s[28:29], -v[43:44]
	v_fma_f64 v[25:26], v[29:30], s[22:23], v[25:26]
	v_add_f64 v[29:30], v[33:34], v[35:36]
	v_add_f64 v[15:16], v[15:16], v[35:36]
	;; [unrolled: 1-line block ×5, first 2 shown]
	v_add_f64 v[71:72], v[84:85], -v[80:81]
	v_add_f64 v[84:85], v[86:87], -v[82:83]
	v_add_f64 v[31:32], v[31:32], v[41:42]
	v_add_f64 v[9:10], v[9:10], v[41:42]
	v_fma_f64 v[23:24], v[21:22], s[10:11], v[23:24]
	v_fma_f64 v[27:28], v[13:14], s[10:11], v[27:28]
	v_add_f64 v[11:12], v[11:12], v[41:42]
	v_fma_f64 v[33:34], v[21:22], s[10:11], v[37:38]
	v_fma_f64 v[37:38], v[13:14], s[10:11], v[39:40]
	;; [unrolled: 1-line block ×3, first 2 shown]
	v_add_f64 v[21:22], v[116:117], v[50:51]
	v_fma_f64 v[13:14], v[13:14], s[10:11], v[25:26]
	v_add_f64 v[39:40], v[120:121], v[35:36]
	v_add_f64 v[55:56], v[31:32], -v[23:24]
	v_add_f64 v[59:60], v[23:24], v[31:32]
	v_add_f64 v[63:64], v[33:34], v[9:10]
	v_add_f64 v[65:66], v[15:16], -v[37:38]
	v_add_f64 v[67:68], v[9:10], -v[33:34]
	v_add_f64 v[23:24], v[100:101], v[21:22]
	v_add_f64 v[69:70], v[37:38], v[15:16]
	;; [unrolled: 1-line block ×3, first 2 shown]
	v_add_f64 v[78:79], v[17:18], -v[13:14]
	v_add_f64 v[80:81], v[11:12], -v[19:20]
	v_add_f64 v[82:83], v[13:14], v[17:18]
	s_waitcnt vmcnt(0)
	v_add_f64 v[11:12], v[3:4], v[39:40]
	v_add_f64 v[3:4], v[50:51], -v[100:101]
	v_add_f64 v[13:14], v[100:101], -v[116:117]
	v_add_f64 v[15:16], v[71:72], v[122:123]
	v_add_f64 v[17:18], v[110:111], -v[120:121]
	v_add_f64 v[25:26], v[120:121], -v[118:119]
	;; [unrolled: 1-line block ×6, first 2 shown]
	v_add_f64 v[57:58], v[27:28], v[29:30]
	v_add_f64 v[61:62], v[29:30], -v[27:28]
	v_add_f64 v[9:10], v[1:2], v[23:24]
	v_add_f64 v[1:2], v[116:117], -v[50:51]
	v_add_f64 v[37:38], v[118:119], -v[110:111]
	v_add_f64 v[29:30], v[84:85], v[124:125]
	v_add_f64 v[19:20], v[112:113], -v[71:72]
	v_add_f64 v[21:22], v[15:16], v[112:113]
	v_add_f64 v[27:28], v[114:115], -v[84:85]
	v_mul_f64 v[13:14], v[13:14], s[14:15]
	v_mul_f64 v[15:16], v[3:4], s[30:31]
	;; [unrolled: 1-line block ×8, first 2 shown]
	v_add_u32_e32 v54, 0x3720, v52
	v_add_f64 v[29:30], v[29:30], v[114:115]
	v_fma_f64 v[35:36], v[23:24], s[6:7], v[9:10]
	v_fma_f64 v[41:42], v[39:40], s[6:7], v[11:12]
	v_fma_f64 v[23:24], v[1:2], s[12:13], -v[13:14]
	v_fma_f64 v[39:40], v[37:38], s[12:13], -v[25:26]
	;; [unrolled: 1-line block ×8, first 2 shown]
	v_add_f64 v[23:24], v[23:24], v[35:36]
	v_add_f64 v[37:38], v[39:40], v[41:42]
	;; [unrolled: 1-line block ×4, first 2 shown]
	v_fma_f64 v[47:48], v[29:30], s[10:11], v[3:4]
	v_fma_f64 v[51:52], v[21:22], s[10:11], v[51:52]
	;; [unrolled: 1-line block ×4, first 2 shown]
	v_add_u32_e32 v71, v54, v53
	ds_write_b128 v71, v[5:8]
	ds_write_b128 v71, v[76:79] offset:96
	ds_write_b128 v71, v[63:66] offset:192
	s_load_dwordx2 s[8:9], s[4:5], 0x60
	s_load_dwordx2 s[6:7], s[20:21], 0x0
	s_load_dwordx4 s[12:15], s[20:21], 0x8
	ds_write_b128 v71, v[55:58] offset:288
	ds_write_b128 v71, v[59:62] offset:384
	ds_write_b128 v71, v[67:70] offset:480
	ds_write_b128 v71, v[80:83] offset:576
	v_add_f64 v[1:2], v[47:48], v[43:44]
	v_add_f64 v[3:4], v[49:50], -v[51:52]
	v_add_f64 v[5:6], v[23:24], -v[39:40]
	v_add_f64 v[7:8], v[45:46], v[37:38]
	s_and_saveexec_b64 s[20:21], s[2:3]
	s_cbranch_execz .LBB0_4
; %bb.3:
	v_mul_f64 v[19:20], v[19:20], s[22:23]
	v_mul_f64 v[27:28], v[27:28], s[22:23]
	;; [unrolled: 1-line block ×4, first 2 shown]
	v_add_f64 v[25:26], v[25:26], v[31:32]
	v_add_f64 v[13:14], v[13:14], v[15:16]
	;; [unrolled: 1-line block ×7, first 2 shown]
	v_add_f64 v[13:14], v[43:44], -v[47:48]
	v_add_f64 v[21:22], v[21:22], v[19:20]
	v_add_f64 v[29:30], v[29:30], v[15:16]
	v_add_f64 v[19:20], v[37:38], -v[45:46]
	v_add_f64 v[15:16], v[51:52], v[49:50]
	v_add_f64 v[23:24], v[21:22], v[25:26]
	v_add_f64 v[27:28], v[25:26], -v[21:22]
	v_add_f64 v[25:26], v[29:30], v[31:32]
	v_add_f64 v[21:22], v[31:32], -v[29:30]
	v_lshl_add_u32 v29, v91, 4, v54
	ds_write_b128 v29, v[9:12] offset:14112
	ds_write_b128 v29, v[1:4] offset:14304
	;; [unrolled: 1-line block ×7, first 2 shown]
.LBB0_4:
	s_or_b64 exec, exec, s[20:21]
	v_mul_lo_u16_e32 v31, 37, v75
	v_mov_b32_e32 v29, 7
	v_mul_lo_u16_sdwa v29, v31, v29 dst_sel:DWORD dst_unused:UNUSED_PAD src0_sel:BYTE_1 src1_sel:DWORD
	v_mul_u32_u24_e32 v9, 0x60, v75
	v_sub_u16_e32 v32, v75, v29
	v_mov_b32_e32 v29, 15
	v_add3_u32 v74, 0, v9, v53
	v_mul_u32_u24_sdwa v29, v32, v29 dst_sel:DWORD dst_unused:UNUSED_PAD src0_sel:BYTE_0 src1_sel:DWORD
	v_add_u32_e32 v33, 0x1800, v74
	v_add_u32_e32 v13, 0x2000, v74
	v_lshlrev_b32_e32 v52, 4, v29
	s_waitcnt lgkmcnt(0)
	s_barrier
	ds_read_b128 v[9:12], v74
	ds_read_b128 v[25:28], v74 offset:2016
	ds_read_b128 v[34:37], v74 offset:4032
	;; [unrolled: 1-line block ×3, first 2 shown]
	ds_read2_b64 v[42:45], v33 offset0:240 offset1:241
	ds_read2_b64 v[46:49], v13 offset0:236 offset1:237
	ds_read_b128 v[54:57], v74 offset:12096
	ds_read_b128 v[58:61], v74 offset:14112
	ds_read_b128 v[62:65], v74 offset:16128
	ds_read_b128 v[66:69], v74 offset:18144
	ds_read_b128 v[76:79], v74 offset:20160
	ds_read_b128 v[80:83], v74 offset:22176
	ds_read_b128 v[84:87], v74 offset:24192
	ds_read_b128 v[21:24], v74 offset:26208
	ds_read_b128 v[17:20], v74 offset:28224
	ds_read_b128 v[13:16], v74 offset:30240
	global_load_dwordx4 v[94:97], v52, s[16:17] offset:48
	global_load_dwordx4 v[98:101], v52, s[16:17] offset:32
	global_load_dwordx4 v[102:105], v52, s[16:17] offset:16
	global_load_dwordx4 v[106:109], v52, s[16:17]
	s_mov_b32 s2, 0x667f3bcd
	s_mov_b32 s3, 0xbfe6a09e
	s_mov_b32 s11, 0x3fe6a09e
	s_mov_b32 s10, s2
	s_mov_b32 s24, 0xcf328d46
	s_mov_b32 s25, 0xbfed906b
	s_mov_b32 s22, 0xa6aea964
	s_mov_b32 s23, 0xbfd87de2
	s_mov_b32 s21, 0x3fd87de2
	s_mov_b32 s20, s22
	s_mov_b32 s27, 0x3fed906b
	s_mov_b32 s26, s24
	s_waitcnt vmcnt(0) lgkmcnt(14)
	v_mul_f64 v[29:30], v[27:28], v[108:109]
	v_fma_f64 v[29:30], v[25:26], v[106:107], -v[29:30]
	v_mul_f64 v[25:26], v[25:26], v[108:109]
	v_fma_f64 v[50:51], v[27:28], v[106:107], v[25:26]
	s_waitcnt lgkmcnt(13)
	v_mul_f64 v[25:26], v[36:37], v[104:105]
	s_waitcnt lgkmcnt(12)
	v_mul_f64 v[27:28], v[38:39], v[100:101]
	v_fma_f64 v[70:71], v[34:35], v[102:103], -v[25:26]
	v_mul_f64 v[25:26], v[34:35], v[104:105]
	s_waitcnt lgkmcnt(11)
	v_mul_f64 v[34:35], v[44:45], v[96:97]
	v_fma_f64 v[27:28], v[40:41], v[98:99], v[27:28]
	v_fma_f64 v[88:89], v[36:37], v[102:103], v[25:26]
	v_mul_f64 v[25:26], v[40:41], v[100:101]
	v_fma_f64 v[25:26], v[38:39], v[98:99], -v[25:26]
	v_fma_f64 v[98:99], v[42:43], v[94:95], -v[34:35]
	v_mul_f64 v[34:35], v[42:43], v[96:97]
	v_fma_f64 v[100:101], v[44:45], v[94:95], v[34:35]
	global_load_dwordx4 v[34:37], v52, s[16:17] offset:112
	global_load_dwordx4 v[38:41], v52, s[16:17] offset:96
	;; [unrolled: 1-line block ×4, first 2 shown]
	s_waitcnt vmcnt(0) lgkmcnt(10)
	v_mul_f64 v[102:103], v[48:49], v[96:97]
	v_fma_f64 v[102:103], v[46:47], v[94:95], -v[102:103]
	v_mul_f64 v[46:47], v[46:47], v[96:97]
	v_fma_f64 v[94:95], v[48:49], v[94:95], v[46:47]
	s_waitcnt lgkmcnt(9)
	v_mul_f64 v[46:47], v[56:57], v[44:45]
	v_mul_f64 v[44:45], v[54:55], v[44:45]
	v_fma_f64 v[96:97], v[54:55], v[42:43], -v[46:47]
	v_fma_f64 v[54:55], v[56:57], v[42:43], v[44:45]
	s_waitcnt lgkmcnt(8)
	v_mul_f64 v[42:43], v[60:61], v[40:41]
	v_mul_f64 v[40:41], v[58:59], v[40:41]
	v_fma_f64 v[56:57], v[58:59], v[38:39], -v[42:43]
	;; [unrolled: 5-line block ×3, first 2 shown]
	v_fma_f64 v[62:63], v[64:65], v[34:35], v[36:37]
	global_load_dwordx4 v[34:37], v52, s[16:17] offset:176
	global_load_dwordx4 v[38:41], v52, s[16:17] offset:160
	;; [unrolled: 1-line block ×4, first 2 shown]
	s_waitcnt vmcnt(0) lgkmcnt(6)
	v_mul_f64 v[64:65], v[68:69], v[48:49]
	v_mul_f64 v[48:49], v[66:67], v[48:49]
	v_fma_f64 v[64:65], v[66:67], v[46:47], -v[64:65]
	v_fma_f64 v[46:47], v[68:69], v[46:47], v[48:49]
	s_waitcnt lgkmcnt(5)
	v_mul_f64 v[48:49], v[78:79], v[44:45]
	v_mul_f64 v[44:45], v[76:77], v[44:45]
	v_add_f64 v[64:65], v[29:30], -v[64:65]
	v_add_f64 v[46:47], v[50:51], -v[46:47]
	v_fma_f64 v[48:49], v[76:77], v[42:43], -v[48:49]
	v_fma_f64 v[66:67], v[78:79], v[42:43], v[44:45]
	s_waitcnt lgkmcnt(4)
	v_mul_f64 v[42:43], v[82:83], v[40:41]
	v_mul_f64 v[40:41], v[80:81], v[40:41]
	v_fma_f64 v[29:30], v[29:30], 2.0, -v[64:65]
	v_fma_f64 v[50:51], v[50:51], 2.0, -v[46:47]
	v_fma_f64 v[68:69], v[80:81], v[38:39], -v[42:43]
	v_fma_f64 v[76:77], v[82:83], v[38:39], v[40:41]
	s_waitcnt lgkmcnt(3)
	v_mul_f64 v[38:39], v[86:87], v[36:37]
	v_mul_f64 v[36:37], v[84:85], v[36:37]
	v_add_f64 v[68:69], v[25:26], -v[68:69]
	v_add_f64 v[76:77], v[27:28], -v[76:77]
	v_fma_f64 v[78:79], v[84:85], v[34:35], -v[38:39]
	v_fma_f64 v[80:81], v[86:87], v[34:35], v[36:37]
	global_load_dwordx4 v[34:37], v52, s[16:17] offset:224
	global_load_dwordx4 v[38:41], v52, s[16:17] offset:208
	;; [unrolled: 1-line block ×3, first 2 shown]
	s_waitcnt vmcnt(0) lgkmcnt(0)
	s_barrier
	v_fma_f64 v[25:26], v[25:26], 2.0, -v[68:69]
	v_fma_f64 v[27:28], v[27:28], 2.0, -v[76:77]
	v_mul_f64 v[82:83], v[23:24], v[44:45]
	v_fma_f64 v[82:83], v[21:22], v[42:43], -v[82:83]
	v_mul_f64 v[21:22], v[21:22], v[44:45]
	v_add_f64 v[44:45], v[70:71], -v[48:49]
	v_add_f64 v[48:49], v[88:89], -v[66:67]
	v_fma_f64 v[21:22], v[23:24], v[42:43], v[21:22]
	v_mul_f64 v[23:24], v[19:20], v[40:41]
	v_add_f64 v[21:22], v[94:95], -v[21:22]
	v_fma_f64 v[23:24], v[17:18], v[38:39], -v[23:24]
	v_mul_f64 v[17:18], v[17:18], v[40:41]
	v_add_f64 v[23:24], v[96:97], -v[23:24]
	v_fma_f64 v[17:18], v[19:20], v[38:39], v[17:18]
	v_mul_f64 v[19:20], v[15:16], v[36:37]
	v_add_f64 v[38:39], v[100:101], -v[80:81]
	v_fma_f64 v[80:81], v[94:95], 2.0, -v[21:22]
	v_add_f64 v[21:22], v[64:65], -v[21:22]
	v_fma_f64 v[66:67], v[96:97], 2.0, -v[23:24]
	v_add_f64 v[17:18], v[54:55], -v[17:18]
	v_fma_f64 v[19:20], v[13:14], v[34:35], -v[19:20]
	v_mul_f64 v[13:14], v[13:14], v[36:37]
	v_add_f64 v[36:37], v[98:99], -v[78:79]
	v_fma_f64 v[42:43], v[100:101], 2.0, -v[38:39]
	v_add_f64 v[23:24], v[48:49], v[23:24]
	v_add_f64 v[80:81], v[50:51], -v[80:81]
	v_fma_f64 v[64:65], v[64:65], 2.0, -v[21:22]
	v_fma_f64 v[54:55], v[54:55], 2.0, -v[17:18]
	v_add_f64 v[19:20], v[56:57], -v[19:20]
	v_fma_f64 v[13:14], v[15:16], v[34:35], v[13:14]
	v_add_f64 v[15:16], v[9:10], -v[60:61]
	v_add_f64 v[34:35], v[11:12], -v[62:63]
	v_fma_f64 v[60:61], v[70:71], 2.0, -v[44:45]
	v_add_f64 v[70:71], v[102:103], -v[82:83]
	v_add_f64 v[17:18], v[44:45], -v[17:18]
	v_fma_f64 v[40:41], v[98:99], 2.0, -v[36:37]
	v_fma_f64 v[56:57], v[56:57], 2.0, -v[19:20]
	v_add_f64 v[13:14], v[58:59], -v[13:14]
	v_add_f64 v[38:39], v[15:16], -v[38:39]
	v_fma_f64 v[9:10], v[9:10], 2.0, -v[15:16]
	v_add_f64 v[36:37], v[34:35], v[36:37]
	v_fma_f64 v[78:79], v[102:103], 2.0, -v[70:71]
	v_fma_f64 v[44:45], v[44:45], 2.0, -v[17:18]
	v_fma_f64 v[11:12], v[11:12], 2.0, -v[34:35]
	v_fma_f64 v[62:63], v[88:89], 2.0, -v[48:49]
	v_fma_f64 v[58:59], v[58:59], 2.0, -v[13:14]
	v_fma_f64 v[15:16], v[15:16], 2.0, -v[38:39]
	v_fma_f64 v[48:49], v[48:49], 2.0, -v[23:24]
	v_fma_f64 v[34:35], v[34:35], 2.0, -v[36:37]
	v_add_f64 v[78:79], v[29:30], -v[78:79]
	v_add_f64 v[70:71], v[46:47], v[70:71]
	v_add_f64 v[56:57], v[25:26], -v[56:57]
	v_add_f64 v[19:20], v[76:77], v[19:20]
	v_add_f64 v[58:59], v[27:28], -v[58:59]
	v_fma_f64 v[82:83], v[44:45], s[2:3], v[15:16]
	v_add_f64 v[40:41], v[9:10], -v[40:41]
	v_add_f64 v[42:43], v[11:12], -v[42:43]
	;; [unrolled: 1-line block ×4, first 2 shown]
	v_fma_f64 v[29:30], v[29:30], 2.0, -v[78:79]
	v_fma_f64 v[50:51], v[50:51], 2.0, -v[80:81]
	;; [unrolled: 1-line block ×5, first 2 shown]
	v_add_f64 v[13:14], v[68:69], -v[13:14]
	v_fma_f64 v[76:77], v[76:77], 2.0, -v[19:20]
	v_fma_f64 v[84:85], v[48:49], s[2:3], v[34:35]
	v_fma_f64 v[82:83], v[48:49], s[2:3], v[82:83]
	v_fma_f64 v[9:10], v[9:10], 2.0, -v[40:41]
	v_fma_f64 v[11:12], v[11:12], 2.0, -v[42:43]
	;; [unrolled: 1-line block ×5, first 2 shown]
	v_add_f64 v[88:89], v[42:43], v[66:67]
	v_fma_f64 v[84:85], v[44:45], s[10:11], v[84:85]
	v_fma_f64 v[44:45], v[15:16], 2.0, -v[82:83]
	v_fma_f64 v[15:16], v[17:18], s[10:11], v[38:39]
	v_fma_f64 v[48:49], v[23:24], s[10:11], v[36:37]
	v_add_f64 v[66:67], v[29:30], -v[25:26]
	v_add_f64 v[98:99], v[50:51], -v[27:28]
	v_fma_f64 v[25:26], v[76:77], s[2:3], v[46:47]
	v_add_f64 v[60:61], v[9:10], -v[60:61]
	v_add_f64 v[62:63], v[11:12], -v[62:63]
	v_fma_f64 v[34:35], v[34:35], 2.0, -v[84:85]
	v_fma_f64 v[94:95], v[23:24], s[2:3], v[15:16]
	v_fma_f64 v[96:97], v[17:18], s[10:11], v[48:49]
	;; [unrolled: 1-line block ×3, first 2 shown]
	v_fma_f64 v[17:18], v[50:51], 2.0, -v[98:99]
	v_fma_f64 v[50:51], v[68:69], s[10:11], v[25:26]
	v_fma_f64 v[9:10], v[9:10], 2.0, -v[60:61]
	v_fma_f64 v[11:12], v[11:12], 2.0, -v[62:63]
	v_fma_f64 v[15:16], v[29:30], 2.0, -v[66:67]
	v_add_f64 v[86:87], v[40:41], -v[54:55]
	v_add_f64 v[100:101], v[78:79], -v[58:59]
	v_fma_f64 v[29:30], v[76:77], s[2:3], v[23:24]
	v_add_f64 v[76:77], v[80:81], v[56:57]
	v_fma_f64 v[25:26], v[46:47], 2.0, -v[50:51]
	v_fma_f64 v[46:47], v[19:20], s[10:11], v[70:71]
	v_fma_f64 v[27:28], v[13:14], s[10:11], v[21:22]
	v_fma_f64 v[42:43], v[42:43], 2.0, -v[88:89]
	v_fma_f64 v[40:41], v[40:41], 2.0, -v[86:87]
	;; [unrolled: 1-line block ×6, first 2 shown]
	v_fma_f64 v[104:105], v[13:14], s[10:11], v[46:47]
	v_add_f64 v[13:14], v[9:10], -v[15:16]
	v_add_f64 v[15:16], v[11:12], -v[17:18]
	v_fma_f64 v[38:39], v[80:81], 2.0, -v[76:77]
	v_fma_f64 v[102:103], v[19:20], s[2:3], v[27:28]
	v_fma_f64 v[56:57], v[70:71], 2.0, -v[104:105]
	v_fma_f64 v[17:18], v[9:10], 2.0, -v[13:14]
	;; [unrolled: 1-line block ×3, first 2 shown]
	v_fma_f64 v[9:10], v[23:24], s[24:25], v[44:45]
	v_fma_f64 v[11:12], v[25:26], s[24:25], v[34:35]
	v_fma_f64 v[46:47], v[21:22], 2.0, -v[102:103]
	v_fma_f64 v[21:22], v[25:26], s[22:23], v[9:10]
	v_fma_f64 v[23:24], v[23:24], s[20:21], v[11:12]
	;; [unrolled: 1-line block ×4, first 2 shown]
	v_fma_f64 v[25:26], v[44:45], 2.0, -v[21:22]
	v_fma_f64 v[27:28], v[34:35], 2.0, -v[23:24]
	v_fma_f64 v[34:35], v[38:39], s[2:3], v[9:10]
	v_fma_f64 v[36:37], v[36:37], s[10:11], v[11:12]
	;; [unrolled: 1-line block ×4, first 2 shown]
	v_fma_f64 v[38:39], v[40:41], 2.0, -v[34:35]
	v_fma_f64 v[40:41], v[42:43], 2.0, -v[36:37]
	v_fma_f64 v[42:43], v[56:57], s[24:25], v[9:10]
	v_fma_f64 v[44:45], v[46:47], s[26:27], v[11:12]
	v_add_f64 v[56:57], v[62:63], v[66:67]
	v_fma_f64 v[9:10], v[29:30], s[20:21], v[82:83]
	v_fma_f64 v[11:12], v[50:51], s[20:21], v[84:85]
	v_fma_f64 v[46:47], v[48:49], 2.0, -v[42:43]
	v_fma_f64 v[48:49], v[54:55], 2.0, -v[44:45]
	v_add_f64 v[54:55], v[60:61], -v[98:99]
	v_fma_f64 v[64:65], v[29:30], s[26:27], v[11:12]
	v_fma_f64 v[11:12], v[76:77], s[10:11], v[88:89]
	v_fma_f64 v[58:59], v[60:61], 2.0, -v[54:55]
	v_fma_f64 v[60:61], v[62:63], 2.0, -v[56:57]
	v_fma_f64 v[62:63], v[50:51], s[24:25], v[9:10]
	v_fma_f64 v[9:10], v[100:101], s[10:11], v[86:87]
	;; [unrolled: 1-line block ×4, first 2 shown]
	v_fma_f64 v[68:69], v[84:85], 2.0, -v[64:65]
	v_fma_f64 v[66:67], v[82:83], 2.0, -v[62:63]
	v_fma_f64 v[76:77], v[76:77], s[2:3], v[9:10]
	v_fma_f64 v[9:10], v[102:103], s[26:27], v[94:95]
	;; [unrolled: 1-line block ×3, first 2 shown]
	s_movk_i32 s2, 0x70
	v_mul_u32_u24_sdwa v29, v31, s2 dst_sel:DWORD dst_unused:UNUSED_PAD src0_sel:BYTE_1 src1_sel:DWORD
	v_or_b32_sdwa v29, v29, v32 dst_sel:DWORD dst_unused:UNUSED_PAD src0_sel:DWORD src1_sel:BYTE_0
	v_fma_f64 v[82:83], v[88:89], 2.0, -v[78:79]
	v_mul_u32_u24_e32 v29, 0x60, v29
	v_fma_f64 v[80:81], v[86:87], 2.0, -v[76:77]
	v_fma_f64 v[9:10], v[104:105], s[22:23], v[9:10]
	v_fma_f64 v[86:87], v[96:97], 2.0, -v[11:12]
	v_add3_u32 v29, 0, v29, v53
	v_cmp_gt_u32_e64 s[2:3], 42, v0
	v_fma_f64 v[84:85], v[94:95], 2.0, -v[9:10]
	ds_write_b128 v29, v[17:20]
	ds_write_b128 v29, v[25:28] offset:672
	ds_write_b128 v29, v[38:41] offset:1344
	;; [unrolled: 1-line block ×15, first 2 shown]
	s_waitcnt lgkmcnt(0)
	s_barrier
	ds_read_b128 v[29:32], v74
	ds_read_b128 v[69:72], v74 offset:10752
	ds_read_b128 v[65:68], v74 offset:21504
	ds_read_b128 v[25:28], v74 offset:2016
	ds_read_b128 v[61:64], v74 offset:12768
	ds_read_b128 v[57:60], v74 offset:23520
	ds_read_b128 v[21:24], v74 offset:4032
	ds_read_b128 v[49:52], v74 offset:14784
	ds_read_b128 v[53:56], v74 offset:25536
	ds_read_b128 v[17:20], v74 offset:6048
	ds_read_b128 v[45:48], v74 offset:16800
	ds_read_b128 v[41:44], v74 offset:27552
	ds_read2_b64 v[13:16], v33 offset0:240 offset1:241
	ds_read_b128 v[37:40], v74 offset:18816
	ds_read_b128 v[33:36], v74 offset:29568
	s_and_saveexec_b64 s[10:11], s[2:3]
	s_cbranch_execz .LBB0_6
; %bb.5:
	v_add_u32_e32 v1, 0x2760, v74
	ds_read2_b64 v[9:12], v1 offset1:1
	ds_read_b128 v[1:4], v74 offset:20832
	ds_read_b128 v[5:8], v74 offset:31584
.LBB0_6:
	s_or_b64 exec, exec, s[10:11]
	s_mul_i32 s2, s12, s19
	s_mul_i32 s7, s14, s18
	s_add_i32 s7, s7, s2
	s_movk_i32 s2, 0x2a0
	v_add_u32_e32 v74, 0xffffff90, v75
	v_cmp_gt_u32_e64 s[2:3], s2, v0
	v_cndmask_b32_e64 v97, v74, v75, s[2:3]
	v_lshlrev_b32_e32 v83, 1, v97
	v_mov_b32_e32 v84, 0
	v_lshlrev_b64 v[76:77], 4, v[83:84]
	v_mov_b32_e32 v74, s17
	v_add_co_u32_e64 v85, s[2:3], s16, v76
	v_addc_co_u32_e64 v86, s[2:3], v74, v77, s[2:3]
	global_load_dwordx4 v[76:79], v[85:86], off offset:1696
	global_load_dwordx4 v[80:83], v[85:86], off offset:1680
	s_movk_i32 s2, 0x222
	v_cmp_gt_u32_e64 s[2:3], s2, v0
	v_add_u32_e32 v96, 63, v75
	v_add_u32_e32 v95, 0x54, v75
	;; [unrolled: 1-line block ×3, first 2 shown]
	s_mov_b32 s11, 0xbfebb67a
	s_load_dwordx2 s[4:5], s[4:5], 0x8
	v_mov_b32_e32 v103, 0x2000
	s_movk_i32 s13, 0xe0
	s_waitcnt vmcnt(0) lgkmcnt(0)
	v_mul_f64 v[85:86], v[71:72], v[82:83]
	v_fma_f64 v[88:89], v[69:70], v[80:81], -v[85:86]
	v_mul_f64 v[69:70], v[69:70], v[82:83]
	v_fma_f64 v[80:81], v[71:72], v[80:81], v[69:70]
	v_mul_f64 v[69:70], v[67:68], v[78:79]
	v_fma_f64 v[105:106], v[65:66], v[76:77], -v[69:70]
	v_mul_f64 v[65:66], v[65:66], v[78:79]
	v_fma_f64 v[76:77], v[67:68], v[76:77], v[65:66]
	v_add_u32_e32 v65, 0xffffffa5, v75
	v_cndmask_b32_e64 v108, v65, v92, s[2:3]
	v_lshlrev_b32_e32 v83, 1, v108
	v_lshlrev_b64 v[65:66], 4, v[83:84]
	v_add_co_u32_e64 v78, s[2:3], s16, v65
	v_addc_co_u32_e64 v79, s[2:3], v74, v66, s[2:3]
	global_load_dwordx4 v[65:68], v[78:79], off offset:1696
	global_load_dwordx4 v[69:72], v[78:79], off offset:1680
	s_movk_i32 s2, 0x1a4
	v_cmp_gt_u32_e64 s[2:3], s2, v0
	s_waitcnt vmcnt(0)
	v_mul_f64 v[78:79], v[63:64], v[71:72]
	v_fma_f64 v[109:110], v[61:62], v[69:70], -v[78:79]
	v_mul_f64 v[61:62], v[61:62], v[71:72]
	v_fma_f64 v[69:70], v[63:64], v[69:70], v[61:62]
	v_mul_f64 v[61:62], v[59:60], v[67:68]
	v_fma_f64 v[71:72], v[57:58], v[65:66], -v[61:62]
	v_mul_f64 v[57:58], v[57:58], v[67:68]
	v_fma_f64 v[65:66], v[59:60], v[65:66], v[57:58]
	v_add_u32_e32 v57, 0xffffffba, v75
	v_cndmask_b32_e64 v107, v57, v93, s[2:3]
	v_lshlrev_b32_e32 v83, 1, v107
	v_lshlrev_b64 v[57:58], 4, v[83:84]
	v_add_co_u32_e64 v67, s[2:3], s16, v57
	v_addc_co_u32_e64 v68, s[2:3], v74, v58, s[2:3]
	global_load_dwordx4 v[57:60], v[67:68], off offset:1696
	global_load_dwordx4 v[61:64], v[67:68], off offset:1680
	s_mov_b32 s2, 0xe8584caa
	s_mov_b32 s3, 0x3febb67a
	;; [unrolled: 1-line block ×3, first 2 shown]
	s_waitcnt vmcnt(0)
	v_mul_f64 v[67:68], v[51:52], v[63:64]
	v_fma_f64 v[67:68], v[49:50], v[61:62], -v[67:68]
	v_mul_f64 v[49:50], v[49:50], v[63:64]
	v_fma_f64 v[61:62], v[51:52], v[61:62], v[49:50]
	v_mul_f64 v[49:50], v[55:56], v[59:60]
	v_fma_f64 v[63:64], v[53:54], v[57:58], -v[49:50]
	v_mul_f64 v[49:50], v[53:54], v[59:60]
	v_fma_f64 v[57:58], v[55:56], v[57:58], v[49:50]
	v_mul_lo_u16_e32 v49, 0x93, v96
	v_lshrrev_b16_e32 v98, 14, v49
	v_mul_lo_u16_e32 v49, 0x70, v98
	v_sub_u16_e32 v49, v96, v49
	v_and_b32_e32 v104, 0xff, v49
	v_lshlrev_b32_e32 v59, 5, v104
	global_load_dwordx4 v[49:52], v59, s[16:17] offset:1696
	global_load_dwordx4 v[53:56], v59, s[16:17] offset:1680
	s_waitcnt vmcnt(0)
	v_mul_f64 v[59:60], v[47:48], v[55:56]
	v_fma_f64 v[59:60], v[45:46], v[53:54], -v[59:60]
	v_mul_f64 v[45:46], v[45:46], v[55:56]
	v_fma_f64 v[53:54], v[47:48], v[53:54], v[45:46]
	v_mul_f64 v[45:46], v[43:44], v[51:52]
	v_fma_f64 v[55:56], v[41:42], v[49:50], -v[45:46]
	v_mul_f64 v[41:42], v[41:42], v[51:52]
	v_fma_f64 v[49:50], v[43:44], v[49:50], v[41:42]
	v_mul_lo_u16_e32 v41, 0x93, v95
	v_lshrrev_b16_e32 v99, 14, v41
	v_mul_lo_u16_e32 v41, 0x70, v99
	v_sub_u16_e32 v41, v95, v41
	v_and_b32_e32 v102, 0xff, v41
	v_lshlrev_b32_e32 v51, 5, v102
	global_load_dwordx4 v[41:44], v51, s[16:17] offset:1696
	global_load_dwordx4 v[45:48], v51, s[16:17] offset:1680
	s_waitcnt vmcnt(0)
	v_mul_f64 v[51:52], v[39:40], v[47:48]
	v_fma_f64 v[74:75], v[37:38], v[45:46], -v[51:52]
	v_mul_f64 v[37:38], v[37:38], v[47:48]
	v_fma_f64 v[111:112], v[39:40], v[45:46], v[37:38]
	v_mul_f64 v[37:38], v[35:36], v[43:44]
	v_fma_f64 v[113:114], v[33:34], v[41:42], -v[37:38]
	v_mul_f64 v[33:34], v[33:34], v[43:44]
	v_fma_f64 v[115:116], v[35:36], v[41:42], v[33:34]
	v_mul_u32_u24_e32 v33, 0x24a, v94
	v_lshrrev_b32_e32 v100, 16, v33
	v_mul_lo_u16_e32 v33, 0x70, v100
	v_sub_u16_e32 v101, v94, v33
	v_lshlrev_b32_e32 v41, 5, v101
	global_load_dwordx4 v[33:36], v41, s[16:17] offset:1696
	global_load_dwordx4 v[37:40], v41, s[16:17] offset:1680
	s_waitcnt vmcnt(0)
	v_mul_f64 v[41:42], v[3:4], v[39:40]
	v_fma_f64 v[117:118], v[1:2], v[37:38], -v[41:42]
	v_mul_f64 v[1:2], v[1:2], v[39:40]
	v_fma_f64 v[1:2], v[3:4], v[37:38], v[1:2]
	v_mul_f64 v[3:4], v[7:8], v[35:36]
	v_fma_f64 v[3:4], v[5:6], v[33:34], -v[3:4]
	v_mul_f64 v[5:6], v[5:6], v[35:36]
	v_fma_f64 v[5:6], v[7:8], v[33:34], v[5:6]
	v_add_f64 v[7:8], v[29:30], v[88:89]
	v_add_f64 v[119:120], v[7:8], v[105:106]
	;; [unrolled: 1-line block ×3, first 2 shown]
	v_fma_f64 v[7:8], v[7:8], -0.5, v[29:30]
	v_add_f64 v[29:30], v[80:81], -v[76:77]
	v_fma_f64 v[121:122], v[29:30], s[2:3], v[7:8]
	v_fma_f64 v[86:87], v[29:30], s[10:11], v[7:8]
	v_add_f64 v[7:8], v[31:32], v[80:81]
	v_add_f64 v[29:30], v[88:89], -v[105:106]
	v_mov_b32_e32 v106, 4
	v_mov_b32_e32 v105, 0x1000
	v_add_f64 v[123:124], v[7:8], v[76:77]
	v_add_f64 v[7:8], v[80:81], v[76:77]
	v_fma_f64 v[7:8], v[7:8], -0.5, v[31:32]
	v_fma_f64 v[125:126], v[29:30], s[10:11], v[7:8]
	v_fma_f64 v[88:89], v[29:30], s[2:3], v[7:8]
	v_add_f64 v[7:8], v[25:26], v[109:110]
	v_add_f64 v[82:83], v[7:8], v[71:72]
	v_add_f64 v[7:8], v[109:110], v[71:72]
	v_fma_f64 v[7:8], v[7:8], -0.5, v[25:26]
	v_add_f64 v[25:26], v[69:70], -v[65:66]
	v_fma_f64 v[78:79], v[25:26], s[2:3], v[7:8]
	v_fma_f64 v[25:26], v[25:26], s[10:11], v[7:8]
	v_add_f64 v[7:8], v[27:28], v[69:70]
	v_add_f64 v[84:85], v[7:8], v[65:66]
	v_add_f64 v[7:8], v[69:70], v[65:66]
	v_fma_f64 v[7:8], v[7:8], -0.5, v[27:28]
	v_add_f64 v[27:28], v[109:110], -v[71:72]
	;; [unrolled: 7-line block ×3, first 2 shown]
	v_fma_f64 v[31:32], v[21:22], s[2:3], v[7:8]
	v_fma_f64 v[35:36], v[21:22], s[10:11], v[7:8]
	v_add_f64 v[7:8], v[23:24], v[61:62]
	v_add_f64 v[21:22], v[67:68], -v[63:64]
	v_add_f64 v[29:30], v[7:8], v[57:58]
	v_add_f64 v[7:8], v[61:62], v[57:58]
	v_fma_f64 v[7:8], v[7:8], -0.5, v[23:24]
	v_mul_lo_u32 v23, v73, v108
	v_fma_f64 v[33:34], v[21:22], s[10:11], v[7:8]
	v_fma_f64 v[37:38], v[21:22], s[2:3], v[7:8]
	v_add_f64 v[7:8], v[17:18], v[59:60]
	v_add_f64 v[39:40], v[7:8], v[55:56]
	;; [unrolled: 1-line block ×3, first 2 shown]
	v_fma_f64 v[7:8], v[7:8], -0.5, v[17:18]
	v_add_f64 v[17:18], v[53:54], -v[49:50]
	v_fma_f64 v[43:44], v[17:18], s[2:3], v[7:8]
	v_fma_f64 v[47:48], v[17:18], s[10:11], v[7:8]
	v_add_f64 v[7:8], v[19:20], v[53:54]
	v_add_f64 v[17:18], v[59:60], -v[55:56]
	v_add_f64 v[41:42], v[7:8], v[49:50]
	v_add_f64 v[7:8], v[53:54], v[49:50]
	v_fma_f64 v[7:8], v[7:8], -0.5, v[19:20]
	v_fma_f64 v[45:46], v[17:18], s[10:11], v[7:8]
	v_fma_f64 v[49:50], v[17:18], s[2:3], v[7:8]
	v_add_f64 v[7:8], v[13:14], v[74:75]
	v_add_f64 v[51:52], v[7:8], v[113:114]
	;; [unrolled: 1-line block ×3, first 2 shown]
	v_fma_f64 v[7:8], v[7:8], -0.5, v[13:14]
	v_add_f64 v[13:14], v[111:112], -v[115:116]
	v_fma_f64 v[55:56], v[13:14], s[2:3], v[7:8]
	v_fma_f64 v[59:60], v[13:14], s[10:11], v[7:8]
	v_add_f64 v[7:8], v[15:16], v[111:112]
	v_add_f64 v[13:14], v[74:75], -v[113:114]
	v_add_f64 v[53:54], v[7:8], v[115:116]
	v_add_f64 v[7:8], v[111:112], v[115:116]
	v_fma_f64 v[7:8], v[7:8], -0.5, v[15:16]
	v_fma_f64 v[57:58], v[13:14], s[10:11], v[7:8]
	v_fma_f64 v[61:62], v[13:14], s[2:3], v[7:8]
	v_add_f64 v[7:8], v[9:10], v[117:118]
	v_add_f64 v[63:64], v[7:8], v[3:4]
	v_add_f64 v[7:8], v[117:118], v[3:4]
	v_add_f64 v[3:4], v[117:118], -v[3:4]
	v_fma_f64 v[7:8], v[7:8], -0.5, v[9:10]
	v_add_f64 v[9:10], v[1:2], -v[5:6]
	v_fma_f64 v[67:68], v[9:10], s[2:3], v[7:8]
	v_fma_f64 v[74:75], v[9:10], s[10:11], v[7:8]
	v_add_f64 v[7:8], v[11:12], v[1:2]
	v_add_f64 v[1:2], v[1:2], v[5:6]
	;; [unrolled: 1-line block ×3, first 2 shown]
	v_fma_f64 v[1:2], v[1:2], -0.5, v[11:12]
	v_mul_lo_u32 v11, v73, v97
	v_bfe_u32 v5, v11, 8, 8
	v_lshl_or_b32 v5, v5, 4, v105
	global_load_dwordx4 v[5:8], v5, s[4:5]
	v_fma_f64 v[69:70], v[3:4], s[10:11], v[1:2]
	v_fma_f64 v[76:77], v[3:4], s[2:3], v[1:2]
	v_lshlrev_b32_sdwa v1, v106, v11 dst_sel:DWORD dst_unused:UNUSED_PAD src0_sel:DWORD src1_sel:BYTE_0
	global_load_dwordx4 v[1:4], v1, s[4:5]
	s_movk_i32 s2, 0x29f
	v_cmp_lt_u32_e64 s[2:3], s2, v0
	s_mov_b32 s11, 0x20000
	s_mov_b32 s10, -2
	s_waitcnt vmcnt(0)
	v_mul_f64 v[9:10], v[3:4], v[7:8]
	v_fma_f64 v[9:10], v[1:2], v[5:6], -v[9:10]
	v_mul_f64 v[1:2], v[1:2], v[7:8]
	v_fma_f64 v[5:6], v[3:4], v[5:6], v[1:2]
	v_bfe_u32 v1, v11, 16, 8
	v_lshl_or_b32 v1, v1, 4, v103
	global_load_dwordx4 v[1:4], v1, s[4:5]
	s_waitcnt vmcnt(0)
	v_mul_f64 v[7:8], v[5:6], v[3:4]
	v_mul_f64 v[3:4], v[9:10], v[3:4]
	v_fma_f64 v[7:8], v[1:2], v[9:10], -v[7:8]
	v_fma_f64 v[3:4], v[1:2], v[5:6], v[3:4]
	v_add_u32_e32 v5, 0x70, v97
	v_mul_lo_u32 v15, v73, v5
	v_bfe_u32 v9, v15, 8, 8
	v_lshlrev_b32_sdwa v5, v106, v15 dst_sel:DWORD dst_unused:UNUSED_PAD src0_sel:DWORD src1_sel:BYTE_0
	v_mul_f64 v[1:2], v[123:124], v[3:4]
	v_mul_f64 v[3:4], v[119:120], v[3:4]
	v_lshl_or_b32 v9, v9, 4, v105
	global_load_dwordx4 v[9:12], v9, s[4:5]
	v_fma_f64 v[1:2], v[119:120], v[7:8], -v[1:2]
	v_fma_f64 v[3:4], v[123:124], v[7:8], v[3:4]
	global_load_dwordx4 v[5:8], v5, s[4:5]
	s_waitcnt vmcnt(0)
	v_mul_f64 v[13:14], v[7:8], v[11:12]
	v_fma_f64 v[13:14], v[5:6], v[9:10], -v[13:14]
	v_mul_f64 v[5:6], v[5:6], v[11:12]
	v_fma_f64 v[9:10], v[7:8], v[9:10], v[5:6]
	v_bfe_u32 v5, v15, 16, 8
	v_lshl_or_b32 v5, v5, 4, v103
	global_load_dwordx4 v[5:8], v5, s[4:5]
	s_waitcnt vmcnt(0)
	v_mul_f64 v[11:12], v[9:10], v[7:8]
	v_mul_f64 v[7:8], v[13:14], v[7:8]
	v_fma_f64 v[11:12], v[5:6], v[13:14], -v[11:12]
	v_fma_f64 v[7:8], v[5:6], v[9:10], v[7:8]
	v_add_u32_e32 v9, 0xe0, v97
	v_mul_lo_u32 v19, v73, v9
	v_bfe_u32 v13, v19, 8, 8
	v_lshlrev_b32_sdwa v9, v106, v19 dst_sel:DWORD dst_unused:UNUSED_PAD src0_sel:DWORD src1_sel:BYTE_0
	v_mul_f64 v[5:6], v[125:126], v[7:8]
	v_mul_f64 v[7:8], v[121:122], v[7:8]
	v_lshl_or_b32 v13, v13, 4, v105
	global_load_dwordx4 v[13:16], v13, s[4:5]
	v_fma_f64 v[5:6], v[121:122], v[11:12], -v[5:6]
	v_fma_f64 v[7:8], v[125:126], v[11:12], v[7:8]
	global_load_dwordx4 v[9:12], v9, s[4:5]
	s_waitcnt vmcnt(0)
	v_mul_f64 v[17:18], v[11:12], v[15:16]
	v_fma_f64 v[17:18], v[9:10], v[13:14], -v[17:18]
	v_mul_f64 v[9:10], v[9:10], v[15:16]
	v_fma_f64 v[13:14], v[11:12], v[13:14], v[9:10]
	v_bfe_u32 v9, v19, 16, 8
	v_lshl_or_b32 v9, v9, 4, v103
	global_load_dwordx4 v[9:12], v9, s[4:5]
	s_waitcnt vmcnt(0)
	v_mul_f64 v[15:16], v[13:14], v[11:12]
	v_mul_f64 v[11:12], v[17:18], v[11:12]
	v_fma_f64 v[15:16], v[9:10], v[17:18], -v[15:16]
	v_fma_f64 v[11:12], v[9:10], v[13:14], v[11:12]
	v_bfe_u32 v17, v23, 8, 8
	v_lshlrev_b32_sdwa v13, v106, v23 dst_sel:DWORD dst_unused:UNUSED_PAD src0_sel:DWORD src1_sel:BYTE_0
	v_lshl_or_b32 v17, v17, 4, v105
	global_load_dwordx4 v[17:20], v17, s[4:5]
	v_mul_f64 v[9:10], v[88:89], v[11:12]
	v_mul_f64 v[11:12], v[86:87], v[11:12]
	v_fma_f64 v[9:10], v[86:87], v[15:16], -v[9:10]
	v_fma_f64 v[11:12], v[88:89], v[15:16], v[11:12]
	global_load_dwordx4 v[13:16], v13, s[4:5]
	v_mul_lo_u32 v86, v73, v107
	s_waitcnt vmcnt(0)
	v_mul_f64 v[21:22], v[15:16], v[19:20]
	v_fma_f64 v[21:22], v[13:14], v[17:18], -v[21:22]
	v_mul_f64 v[13:14], v[13:14], v[19:20]
	v_fma_f64 v[17:18], v[15:16], v[17:18], v[13:14]
	v_bfe_u32 v13, v23, 16, 8
	v_lshl_or_b32 v13, v13, 4, v103
	global_load_dwordx4 v[13:16], v13, s[4:5]
	s_waitcnt vmcnt(0)
	v_mul_f64 v[19:20], v[17:18], v[15:16]
	v_mul_f64 v[15:16], v[21:22], v[15:16]
	v_fma_f64 v[19:20], v[13:14], v[21:22], -v[19:20]
	v_fma_f64 v[15:16], v[13:14], v[17:18], v[15:16]
	v_add_u32_e32 v17, 0x70, v108
	v_mul_f64 v[13:14], v[84:85], v[15:16]
	v_mul_f64 v[15:16], v[82:83], v[15:16]
	v_fma_f64 v[13:14], v[82:83], v[19:20], -v[13:14]
	v_fma_f64 v[15:16], v[84:85], v[19:20], v[15:16]
	v_mul_lo_u32 v84, v73, v17
	v_bfe_u32 v21, v84, 8, 8
	v_lshlrev_b32_sdwa v17, v106, v84 dst_sel:DWORD dst_unused:UNUSED_PAD src0_sel:DWORD src1_sel:BYTE_0
	v_lshl_or_b32 v21, v21, 4, v105
	global_load_dwordx4 v[17:20], v17, s[4:5]
	s_nop 0
	global_load_dwordx4 v[21:24], v21, s[4:5]
	s_waitcnt vmcnt(0)
	v_mul_f64 v[82:83], v[19:20], v[23:24]
	v_fma_f64 v[82:83], v[17:18], v[21:22], -v[82:83]
	v_mul_f64 v[17:18], v[17:18], v[23:24]
	v_fma_f64 v[21:22], v[19:20], v[21:22], v[17:18]
	v_bfe_u32 v17, v84, 16, 8
	v_lshl_or_b32 v17, v17, 4, v103
	global_load_dwordx4 v[17:20], v17, s[4:5]
	s_waitcnt vmcnt(0)
	v_mul_f64 v[23:24], v[21:22], v[19:20]
	v_mul_f64 v[19:20], v[82:83], v[19:20]
	v_fma_f64 v[23:24], v[17:18], v[82:83], -v[23:24]
	v_fma_f64 v[19:20], v[17:18], v[21:22], v[19:20]
	v_add_u32_e32 v21, 0xe0, v108
	v_mul_lo_u32 v84, v73, v21
	v_lshlrev_b32_sdwa v21, v106, v84 dst_sel:DWORD dst_unused:UNUSED_PAD src0_sel:DWORD src1_sel:BYTE_0
	v_mul_f64 v[17:18], v[80:81], v[19:20]
	v_mul_f64 v[19:20], v[78:79], v[19:20]
	v_fma_f64 v[17:18], v[78:79], v[23:24], -v[17:18]
	v_bfe_u32 v78, v84, 8, 8
	v_lshl_or_b32 v78, v78, 4, v105
	v_fma_f64 v[19:20], v[80:81], v[23:24], v[19:20]
	global_load_dwordx4 v[21:24], v21, s[4:5]
	s_nop 0
	global_load_dwordx4 v[78:81], v78, s[4:5]
	s_waitcnt vmcnt(0)
	v_mul_f64 v[82:83], v[23:24], v[80:81]
	v_fma_f64 v[82:83], v[21:22], v[78:79], -v[82:83]
	v_mul_f64 v[21:22], v[21:22], v[80:81]
	v_fma_f64 v[78:79], v[23:24], v[78:79], v[21:22]
	v_bfe_u32 v21, v84, 16, 8
	v_lshl_or_b32 v21, v21, 4, v103
	global_load_dwordx4 v[21:24], v21, s[4:5]
	s_waitcnt vmcnt(0)
	v_mul_f64 v[80:81], v[78:79], v[23:24]
	v_mul_f64 v[23:24], v[82:83], v[23:24]
	v_fma_f64 v[80:81], v[21:22], v[82:83], -v[80:81]
	v_fma_f64 v[23:24], v[21:22], v[78:79], v[23:24]
	v_mul_f64 v[21:22], v[71:72], v[23:24]
	v_mul_f64 v[23:24], v[25:26], v[23:24]
	v_fma_f64 v[21:22], v[25:26], v[80:81], -v[21:22]
	v_lshlrev_b32_sdwa v25, v106, v86 dst_sel:DWORD dst_unused:UNUSED_PAD src0_sel:DWORD src1_sel:BYTE_0
	v_fma_f64 v[23:24], v[71:72], v[80:81], v[23:24]
	global_load_dwordx4 v[78:81], v25, s[4:5]
	v_bfe_u32 v25, v86, 8, 8
	v_lshl_or_b32 v25, v25, 4, v105
	global_load_dwordx4 v[82:85], v25, s[4:5]
	s_waitcnt vmcnt(0)
	v_mul_f64 v[25:26], v[80:81], v[84:85]
	v_mul_f64 v[71:72], v[78:79], v[84:85]
	v_fma_f64 v[25:26], v[78:79], v[82:83], -v[25:26]
	v_bfe_u32 v78, v86, 16, 8
	v_lshl_or_b32 v78, v78, 4, v103
	v_fma_f64 v[71:72], v[80:81], v[82:83], v[71:72]
	global_load_dwordx4 v[78:81], v78, s[4:5]
	s_waitcnt vmcnt(0)
	v_mul_f64 v[82:83], v[71:72], v[80:81]
	v_fma_f64 v[82:83], v[78:79], v[25:26], -v[82:83]
	v_mul_f64 v[25:26], v[25:26], v[80:81]
	v_fma_f64 v[71:72], v[78:79], v[71:72], v[25:26]
	v_mul_f64 v[25:26], v[29:30], v[71:72]
	v_fma_f64 v[25:26], v[27:28], v[82:83], -v[25:26]
	v_mul_f64 v[27:28], v[27:28], v[71:72]
	v_fma_f64 v[27:28], v[29:30], v[82:83], v[27:28]
	v_add_u32_e32 v29, 0x70, v107
	v_mul_lo_u32 v86, v73, v29
	v_lshlrev_b32_sdwa v29, v106, v86 dst_sel:DWORD dst_unused:UNUSED_PAD src0_sel:DWORD src1_sel:BYTE_0
	global_load_dwordx4 v[78:81], v29, s[4:5]
	v_bfe_u32 v29, v86, 8, 8
	v_lshl_or_b32 v29, v29, 4, v105
	global_load_dwordx4 v[82:85], v29, s[4:5]
	s_waitcnt vmcnt(0)
	v_mul_f64 v[29:30], v[80:81], v[84:85]
	v_mul_f64 v[71:72], v[78:79], v[84:85]
	v_fma_f64 v[29:30], v[78:79], v[82:83], -v[29:30]
	v_bfe_u32 v78, v86, 16, 8
	v_lshl_or_b32 v78, v78, 4, v103
	v_fma_f64 v[71:72], v[80:81], v[82:83], v[71:72]
	global_load_dwordx4 v[78:81], v78, s[4:5]
	s_waitcnt vmcnt(0)
	v_mul_f64 v[82:83], v[71:72], v[80:81]
	v_fma_f64 v[82:83], v[78:79], v[29:30], -v[82:83]
	v_mul_f64 v[29:30], v[29:30], v[80:81]
	v_fma_f64 v[71:72], v[78:79], v[71:72], v[29:30]
	v_mul_f64 v[29:30], v[33:34], v[71:72]
	v_fma_f64 v[29:30], v[31:32], v[82:83], -v[29:30]
	v_mul_f64 v[31:32], v[31:32], v[71:72]
	v_fma_f64 v[31:32], v[33:34], v[82:83], v[31:32]
	v_add_u32_e32 v33, 0xe0, v107
	v_mul_lo_u32 v86, v73, v33
	v_lshlrev_b32_sdwa v33, v106, v86 dst_sel:DWORD dst_unused:UNUSED_PAD src0_sel:DWORD src1_sel:BYTE_0
	global_load_dwordx4 v[78:81], v33, s[4:5]
	v_bfe_u32 v33, v86, 8, 8
	v_lshl_or_b32 v33, v33, 4, v105
	global_load_dwordx4 v[82:85], v33, s[4:5]
	s_waitcnt vmcnt(0)
	v_mul_f64 v[33:34], v[80:81], v[84:85]
	v_mul_f64 v[71:72], v[78:79], v[84:85]
	v_fma_f64 v[33:34], v[78:79], v[82:83], -v[33:34]
	v_bfe_u32 v78, v86, 16, 8
	v_lshl_or_b32 v78, v78, 4, v103
	v_fma_f64 v[71:72], v[80:81], v[82:83], v[71:72]
	global_load_dwordx4 v[78:81], v78, s[4:5]
	v_mul_lo_u32 v86, v73, v104
	s_waitcnt vmcnt(0)
	v_mul_f64 v[82:83], v[71:72], v[80:81]
	v_fma_f64 v[82:83], v[78:79], v[33:34], -v[82:83]
	v_mul_f64 v[33:34], v[33:34], v[80:81]
	v_fma_f64 v[71:72], v[78:79], v[71:72], v[33:34]
	v_mul_f64 v[33:34], v[37:38], v[71:72]
	v_fma_f64 v[33:34], v[35:36], v[82:83], -v[33:34]
	v_mul_f64 v[35:36], v[35:36], v[71:72]
	v_fma_f64 v[35:36], v[37:38], v[82:83], v[35:36]
	v_lshlrev_b32_sdwa v37, v106, v86 dst_sel:DWORD dst_unused:UNUSED_PAD src0_sel:DWORD src1_sel:BYTE_0
	global_load_dwordx4 v[78:81], v37, s[4:5]
	v_bfe_u32 v37, v86, 8, 8
	v_lshl_or_b32 v37, v37, 4, v105
	global_load_dwordx4 v[82:85], v37, s[4:5]
	s_waitcnt vmcnt(0)
	v_mul_f64 v[37:38], v[80:81], v[84:85]
	v_mul_f64 v[71:72], v[78:79], v[84:85]
	v_fma_f64 v[37:38], v[78:79], v[82:83], -v[37:38]
	v_bfe_u32 v78, v86, 16, 8
	v_lshl_or_b32 v78, v78, 4, v103
	v_fma_f64 v[71:72], v[80:81], v[82:83], v[71:72]
	global_load_dwordx4 v[78:81], v78, s[4:5]
	s_waitcnt vmcnt(0)
	v_mul_f64 v[82:83], v[71:72], v[80:81]
	v_fma_f64 v[82:83], v[78:79], v[37:38], -v[82:83]
	v_mul_f64 v[37:38], v[37:38], v[80:81]
	v_fma_f64 v[71:72], v[78:79], v[71:72], v[37:38]
	v_mul_f64 v[37:38], v[41:42], v[71:72]
	v_fma_f64 v[37:38], v[39:40], v[82:83], -v[37:38]
	v_mul_f64 v[39:40], v[39:40], v[71:72]
	v_fma_f64 v[39:40], v[41:42], v[82:83], v[39:40]
	v_add_u32_e32 v41, 0x70, v104
	v_mul_lo_u32 v86, v73, v41
	v_lshlrev_b32_sdwa v41, v106, v86 dst_sel:DWORD dst_unused:UNUSED_PAD src0_sel:DWORD src1_sel:BYTE_0
	global_load_dwordx4 v[78:81], v41, s[4:5]
	v_bfe_u32 v41, v86, 8, 8
	v_lshl_or_b32 v41, v41, 4, v105
	global_load_dwordx4 v[82:85], v41, s[4:5]
	s_waitcnt vmcnt(0)
	v_mul_f64 v[41:42], v[80:81], v[84:85]
	v_mul_f64 v[71:72], v[78:79], v[84:85]
	v_fma_f64 v[41:42], v[78:79], v[82:83], -v[41:42]
	v_bfe_u32 v78, v86, 16, 8
	v_lshl_or_b32 v78, v78, 4, v103
	v_fma_f64 v[71:72], v[80:81], v[82:83], v[71:72]
	global_load_dwordx4 v[78:81], v78, s[4:5]
	s_waitcnt vmcnt(0)
	v_mul_f64 v[82:83], v[71:72], v[80:81]
	v_fma_f64 v[82:83], v[78:79], v[41:42], -v[82:83]
	v_mul_f64 v[41:42], v[41:42], v[80:81]
	v_fma_f64 v[71:72], v[78:79], v[71:72], v[41:42]
	v_mul_f64 v[41:42], v[45:46], v[71:72]
	v_fma_f64 v[41:42], v[43:44], v[82:83], -v[41:42]
	v_mul_f64 v[43:44], v[43:44], v[71:72]
	v_fma_f64 v[43:44], v[45:46], v[82:83], v[43:44]
	v_add_u32_e32 v45, 0xe0, v104
	v_mul_lo_u32 v86, v73, v45
	v_lshlrev_b32_sdwa v45, v106, v86 dst_sel:DWORD dst_unused:UNUSED_PAD src0_sel:DWORD src1_sel:BYTE_0
	global_load_dwordx4 v[78:81], v45, s[4:5]
	v_bfe_u32 v45, v86, 8, 8
	v_lshl_or_b32 v45, v45, 4, v105
	global_load_dwordx4 v[82:85], v45, s[4:5]
	s_waitcnt vmcnt(0)
	v_mul_f64 v[45:46], v[80:81], v[84:85]
	v_mul_f64 v[71:72], v[78:79], v[84:85]
	v_fma_f64 v[45:46], v[78:79], v[82:83], -v[45:46]
	v_bfe_u32 v78, v86, 16, 8
	v_lshl_or_b32 v78, v78, 4, v103
	v_fma_f64 v[71:72], v[80:81], v[82:83], v[71:72]
	global_load_dwordx4 v[78:81], v78, s[4:5]
	v_mul_lo_u32 v86, v73, v102
	s_waitcnt vmcnt(0)
	v_mul_f64 v[82:83], v[71:72], v[80:81]
	v_fma_f64 v[82:83], v[78:79], v[45:46], -v[82:83]
	v_mul_f64 v[45:46], v[45:46], v[80:81]
	v_fma_f64 v[71:72], v[78:79], v[71:72], v[45:46]
	v_mul_f64 v[45:46], v[49:50], v[71:72]
	v_fma_f64 v[45:46], v[47:48], v[82:83], -v[45:46]
	v_mul_f64 v[47:48], v[47:48], v[71:72]
	v_fma_f64 v[47:48], v[49:50], v[82:83], v[47:48]
	v_lshlrev_b32_sdwa v49, v106, v86 dst_sel:DWORD dst_unused:UNUSED_PAD src0_sel:DWORD src1_sel:BYTE_0
	global_load_dwordx4 v[78:81], v49, s[4:5]
	v_bfe_u32 v49, v86, 8, 8
	v_lshl_or_b32 v49, v49, 4, v105
	global_load_dwordx4 v[82:85], v49, s[4:5]
	s_waitcnt vmcnt(0)
	v_mul_f64 v[49:50], v[80:81], v[84:85]
	v_mul_f64 v[71:72], v[78:79], v[84:85]
	v_fma_f64 v[49:50], v[78:79], v[82:83], -v[49:50]
	v_bfe_u32 v78, v86, 16, 8
	v_lshl_or_b32 v78, v78, 4, v103
	v_fma_f64 v[71:72], v[80:81], v[82:83], v[71:72]
	global_load_dwordx4 v[78:81], v78, s[4:5]
	s_waitcnt vmcnt(0)
	v_mul_f64 v[82:83], v[71:72], v[80:81]
	v_fma_f64 v[82:83], v[78:79], v[49:50], -v[82:83]
	v_mul_f64 v[49:50], v[49:50], v[80:81]
	v_fma_f64 v[71:72], v[78:79], v[71:72], v[49:50]
	v_mul_f64 v[49:50], v[53:54], v[71:72]
	v_fma_f64 v[49:50], v[51:52], v[82:83], -v[49:50]
	v_mul_f64 v[51:52], v[51:52], v[71:72]
	v_fma_f64 v[51:52], v[53:54], v[82:83], v[51:52]
	v_add_u32_e32 v53, 0x70, v102
	v_mul_lo_u32 v86, v73, v53
	v_lshlrev_b32_sdwa v53, v106, v86 dst_sel:DWORD dst_unused:UNUSED_PAD src0_sel:DWORD src1_sel:BYTE_0
	global_load_dwordx4 v[78:81], v53, s[4:5]
	v_bfe_u32 v53, v86, 8, 8
	v_lshl_or_b32 v53, v53, 4, v105
	global_load_dwordx4 v[82:85], v53, s[4:5]
	s_waitcnt vmcnt(0)
	v_mul_f64 v[53:54], v[80:81], v[84:85]
	v_mul_f64 v[71:72], v[78:79], v[84:85]
	v_fma_f64 v[53:54], v[78:79], v[82:83], -v[53:54]
	v_bfe_u32 v78, v86, 16, 8
	v_lshl_or_b32 v78, v78, 4, v103
	v_fma_f64 v[71:72], v[80:81], v[82:83], v[71:72]
	global_load_dwordx4 v[78:81], v78, s[4:5]
	s_waitcnt vmcnt(0)
	v_mul_f64 v[82:83], v[71:72], v[80:81]
	v_fma_f64 v[82:83], v[78:79], v[53:54], -v[82:83]
	v_mul_f64 v[53:54], v[53:54], v[80:81]
	v_fma_f64 v[71:72], v[78:79], v[71:72], v[53:54]
	v_mul_f64 v[53:54], v[57:58], v[71:72]
	v_fma_f64 v[53:54], v[55:56], v[82:83], -v[53:54]
	v_mul_f64 v[55:56], v[55:56], v[71:72]
	v_fma_f64 v[55:56], v[57:58], v[82:83], v[55:56]
	v_add_u32_e32 v57, 0xe0, v102
	v_mul_lo_u32 v86, v73, v57
	v_lshlrev_b32_sdwa v57, v106, v86 dst_sel:DWORD dst_unused:UNUSED_PAD src0_sel:DWORD src1_sel:BYTE_0
	global_load_dwordx4 v[78:81], v57, s[4:5]
	v_bfe_u32 v57, v86, 8, 8
	v_lshl_or_b32 v57, v57, 4, v105
	global_load_dwordx4 v[82:85], v57, s[4:5]
	s_waitcnt vmcnt(0)
	v_mul_f64 v[57:58], v[80:81], v[84:85]
	v_mul_f64 v[71:72], v[78:79], v[84:85]
	v_fma_f64 v[57:58], v[78:79], v[82:83], -v[57:58]
	v_bfe_u32 v78, v86, 16, 8
	v_lshl_or_b32 v78, v78, 4, v103
	v_fma_f64 v[71:72], v[80:81], v[82:83], v[71:72]
	global_load_dwordx4 v[78:81], v78, s[4:5]
	v_mul_lo_u32 v86, v73, v101
	s_waitcnt vmcnt(0)
	v_mul_f64 v[82:83], v[71:72], v[80:81]
	v_fma_f64 v[82:83], v[78:79], v[57:58], -v[82:83]
	v_mul_f64 v[57:58], v[57:58], v[80:81]
	v_fma_f64 v[71:72], v[78:79], v[71:72], v[57:58]
	v_mul_f64 v[57:58], v[61:62], v[71:72]
	v_fma_f64 v[57:58], v[59:60], v[82:83], -v[57:58]
	v_mul_f64 v[59:60], v[59:60], v[71:72]
	v_fma_f64 v[59:60], v[61:62], v[82:83], v[59:60]
	v_lshlrev_b32_sdwa v61, v106, v86 dst_sel:DWORD dst_unused:UNUSED_PAD src0_sel:DWORD src1_sel:BYTE_0
	global_load_dwordx4 v[78:81], v61, s[4:5]
	v_bfe_u32 v61, v86, 8, 8
	v_lshl_or_b32 v61, v61, 4, v105
	global_load_dwordx4 v[82:85], v61, s[4:5]
	s_waitcnt vmcnt(0)
	v_mul_f64 v[61:62], v[80:81], v[84:85]
	v_mul_f64 v[71:72], v[78:79], v[84:85]
	v_fma_f64 v[61:62], v[78:79], v[82:83], -v[61:62]
	v_bfe_u32 v78, v86, 16, 8
	v_lshl_or_b32 v78, v78, 4, v103
	v_fma_f64 v[71:72], v[80:81], v[82:83], v[71:72]
	global_load_dwordx4 v[78:81], v78, s[4:5]
	s_waitcnt vmcnt(0)
	v_mul_f64 v[82:83], v[71:72], v[80:81]
	v_fma_f64 v[82:83], v[78:79], v[61:62], -v[82:83]
	v_mul_f64 v[61:62], v[61:62], v[80:81]
	v_fma_f64 v[71:72], v[78:79], v[71:72], v[61:62]
	v_mul_f64 v[61:62], v[65:66], v[71:72]
	v_fma_f64 v[61:62], v[63:64], v[82:83], -v[61:62]
	v_mul_f64 v[63:64], v[63:64], v[71:72]
	v_fma_f64 v[63:64], v[65:66], v[82:83], v[63:64]
	v_add_u32_e32 v65, 0x70, v101
	v_mul_lo_u32 v86, v73, v65
	v_lshlrev_b32_sdwa v65, v106, v86 dst_sel:DWORD dst_unused:UNUSED_PAD src0_sel:DWORD src1_sel:BYTE_0
	global_load_dwordx4 v[78:81], v65, s[4:5]
	v_bfe_u32 v65, v86, 8, 8
	v_lshl_or_b32 v65, v65, 4, v105
	global_load_dwordx4 v[82:85], v65, s[4:5]
	s_waitcnt vmcnt(0)
	v_mul_f64 v[65:66], v[80:81], v[84:85]
	v_mul_f64 v[71:72], v[78:79], v[84:85]
	v_fma_f64 v[65:66], v[78:79], v[82:83], -v[65:66]
	v_bfe_u32 v78, v86, 16, 8
	v_lshl_or_b32 v78, v78, 4, v103
	v_fma_f64 v[71:72], v[80:81], v[82:83], v[71:72]
	global_load_dwordx4 v[78:81], v78, s[4:5]
	s_waitcnt vmcnt(0)
	v_mul_f64 v[82:83], v[71:72], v[80:81]
	v_fma_f64 v[82:83], v[78:79], v[65:66], -v[82:83]
	v_mul_f64 v[65:66], v[65:66], v[80:81]
	v_fma_f64 v[71:72], v[78:79], v[71:72], v[65:66]
	v_mul_f64 v[65:66], v[69:70], v[71:72]
	v_fma_f64 v[65:66], v[67:68], v[82:83], -v[65:66]
	v_mul_f64 v[67:68], v[67:68], v[71:72]
	v_fma_f64 v[67:68], v[69:70], v[82:83], v[67:68]
	v_add_u32_e32 v69, 0xe0, v101
	v_mul_lo_u32 v73, v73, v69
	v_bfe_u32 v78, v73, 8, 8
	v_lshlrev_b32_sdwa v69, v106, v73 dst_sel:DWORD dst_unused:UNUSED_PAD src0_sel:DWORD src1_sel:BYTE_0
	v_lshl_or_b32 v78, v78, 4, v105
	global_load_dwordx4 v[69:72], v69, s[4:5]
	s_nop 0
	global_load_dwordx4 v[78:81], v78, s[4:5]
	s_waitcnt vmcnt(0)
	v_mul_f64 v[82:83], v[71:72], v[80:81]
	v_fma_f64 v[82:83], v[69:70], v[78:79], -v[82:83]
	v_mul_f64 v[69:70], v[69:70], v[80:81]
	v_fma_f64 v[78:79], v[71:72], v[78:79], v[69:70]
	v_bfe_u32 v69, v73, 16, 8
	v_lshl_or_b32 v69, v69, 4, v103
	global_load_dwordx4 v[69:72], v69, s[4:5]
	v_mul_lo_u32 v73, s12, v91
	s_lshl_b32 s4, s7, 4
	s_waitcnt vmcnt(0)
	v_mul_f64 v[80:81], v[78:79], v[71:72]
	v_mul_f64 v[71:72], v[82:83], v[71:72]
	v_fma_f64 v[80:81], v[69:70], v[82:83], -v[80:81]
	v_fma_f64 v[71:72], v[69:70], v[78:79], v[71:72]
	v_mul_f64 v[69:70], v[76:77], v[71:72]
	v_mul_f64 v[71:72], v[74:75], v[71:72]
	v_fma_f64 v[69:70], v[74:75], v[80:81], -v[69:70]
	v_mov_b32_e32 v74, 0x150
	v_cndmask_b32_e64 v74, 0, v74, s[2:3]
	v_add_u32_e32 v74, v97, v74
	v_mul_lo_u32 v75, s6, v74
	s_movk_i32 s2, 0x221
	v_cmp_lt_u32_e64 s[2:3], s2, v0
	v_fma_f64 v[71:72], v[76:77], v[80:81], v[71:72]
	v_add_lshl_u32 v75, v73, v75, 4
	v_cndmask_b32_e64 v75, -1, v75, s[0:1]
	buffer_store_dwordx4 v[1:4], v75, s[8:11], s4 offen
	v_add_u32_e32 v1, 0x70, v74
	v_mul_lo_u32 v1, s6, v1
	v_add_lshl_u32 v1, v73, v1, 4
	v_cndmask_b32_e64 v1, -1, v1, s[0:1]
	buffer_store_dwordx4 v[5:8], v1, s[8:11], s4 offen
	v_add_u32_e32 v1, 0xe0, v74
	v_mul_lo_u32 v1, s6, v1
	v_add_lshl_u32 v1, v73, v1, 4
	v_cndmask_b32_e64 v1, -1, v1, s[0:1]
	buffer_store_dwordx4 v[9:12], v1, s[8:11], s4 offen
	v_mov_b32_e32 v1, 0xe0
	v_cndmask_b32_e64 v2, 0, v1, s[2:3]
	v_add_u32_e32 v2, v92, v2
	v_mul_lo_u32 v3, s6, v2
	s_movk_i32 s2, 0x1a3
	v_cmp_lt_u32_e64 s[2:3], s2, v0
	v_cndmask_b32_e64 v1, 0, v1, s[2:3]
	v_add_lshl_u32 v3, v73, v3, 4
	v_cndmask_b32_e64 v3, -1, v3, s[0:1]
	buffer_store_dwordx4 v[13:16], v3, s[8:11], s4 offen
	v_add_u32_e32 v3, 0x70, v2
	v_add_u32_e32 v2, 0xe0, v2
	v_mul_lo_u32 v3, s6, v3
	v_mul_lo_u32 v2, s6, v2
	v_add_u32_e32 v1, v93, v1
	v_cmp_lt_u32_e64 s[2:3], 41, v0
	v_add_lshl_u32 v3, v73, v3, 4
	v_add_lshl_u32 v2, v73, v2, 4
	v_cndmask_b32_e64 v3, -1, v3, s[0:1]
	v_cndmask_b32_e64 v2, -1, v2, s[0:1]
	buffer_store_dwordx4 v[17:20], v3, s[8:11], s4 offen
	buffer_store_dwordx4 v[21:24], v2, s[8:11], s4 offen
	v_mul_lo_u32 v2, s6, v1
	s_or_b64 vcc, s[2:3], vcc
	v_add_lshl_u32 v2, v73, v2, 4
	v_cndmask_b32_e64 v2, -1, v2, s[0:1]
	buffer_store_dwordx4 v[25:28], v2, s[8:11], s4 offen
	v_add_u32_e32 v2, 0x70, v1
	v_add_u32_e32 v1, 0xe0, v1
	v_mul_lo_u32 v2, s6, v2
	v_mul_lo_u32 v1, s6, v1
	v_add_lshl_u32 v2, v73, v2, 4
	v_add_lshl_u32 v1, v73, v1, 4
	v_cndmask_b32_e64 v2, -1, v2, s[0:1]
	v_cndmask_b32_e64 v1, -1, v1, s[0:1]
	buffer_store_dwordx4 v[29:32], v2, s[8:11], s4 offen
	buffer_store_dwordx4 v[33:36], v1, s[8:11], s4 offen
	v_mad_u32_u24 v1, v98, s13, v96
	v_mul_lo_u32 v2, s6, v1
	v_add_lshl_u32 v2, v73, v2, 4
	v_cndmask_b32_e64 v2, -1, v2, s[0:1]
	buffer_store_dwordx4 v[37:40], v2, s[8:11], s4 offen
	v_add_u32_e32 v2, 0x70, v1
	v_add_u32_e32 v1, 0xe0, v1
	v_mul_lo_u32 v2, s6, v2
	v_mul_lo_u32 v1, s6, v1
	v_add_lshl_u32 v2, v73, v2, 4
	v_add_lshl_u32 v1, v73, v1, 4
	v_cndmask_b32_e64 v2, -1, v2, s[0:1]
	v_cndmask_b32_e64 v1, -1, v1, s[0:1]
	buffer_store_dwordx4 v[41:44], v2, s[8:11], s4 offen
	buffer_store_dwordx4 v[45:48], v1, s[8:11], s4 offen
	v_mad_u32_u24 v1, v99, s13, v95
	v_mul_lo_u32 v2, s6, v1
	;; [unrolled: 15-line block ×3, first 2 shown]
	v_cmp_gt_u32_e64 s[0:1], 42, v0
	v_cndmask_b32_e64 v0, 0, 1, s[0:1]
	v_cndmask_b32_e32 v0, v90, v0, vcc
	v_and_b32_e32 v0, 1, v0
	v_cmp_eq_u32_e32 vcc, 1, v0
	v_add_lshl_u32 v0, v73, v2, 4
	v_cndmask_b32_e32 v0, -1, v0, vcc
	buffer_store_dwordx4 v[61:64], v0, s[8:11], s4 offen
	v_add_u32_e32 v0, 0x70, v1
	v_mul_lo_u32 v0, s6, v0
	v_add_lshl_u32 v0, v73, v0, 4
	v_cndmask_b32_e32 v0, -1, v0, vcc
	buffer_store_dwordx4 v[65:68], v0, s[8:11], s4 offen
	v_add_u32_e32 v0, 0xe0, v1
	v_mul_lo_u32 v0, s6, v0
	v_add_lshl_u32 v0, v73, v0, 4
	v_cndmask_b32_e32 v0, -1, v0, vcc
	buffer_store_dwordx4 v[69:72], v0, s[8:11], s4 offen
	s_endpgm
	.section	.rodata,"a",@progbits
	.p2align	6, 0x0
	.amdhsa_kernel fft_rtc_fwd_len336_factors_7_16_3_wgs_126_tpt_21_dim2_dp_op_CI_CI_sbcc_twdbase8_3step_dirReg_intrinsicReadWrite
		.amdhsa_group_segment_fixed_size 0
		.amdhsa_private_segment_fixed_size 0
		.amdhsa_kernarg_size 104
		.amdhsa_user_sgpr_count 6
		.amdhsa_user_sgpr_private_segment_buffer 1
		.amdhsa_user_sgpr_dispatch_ptr 0
		.amdhsa_user_sgpr_queue_ptr 0
		.amdhsa_user_sgpr_kernarg_segment_ptr 1
		.amdhsa_user_sgpr_dispatch_id 0
		.amdhsa_user_sgpr_flat_scratch_init 0
		.amdhsa_user_sgpr_private_segment_size 0
		.amdhsa_uses_dynamic_stack 0
		.amdhsa_system_sgpr_private_segment_wavefront_offset 0
		.amdhsa_system_sgpr_workgroup_id_x 1
		.amdhsa_system_sgpr_workgroup_id_y 0
		.amdhsa_system_sgpr_workgroup_id_z 0
		.amdhsa_system_sgpr_workgroup_info 0
		.amdhsa_system_vgpr_workitem_id 0
		.amdhsa_next_free_vgpr 127
		.amdhsa_next_free_sgpr 34
		.amdhsa_reserve_vcc 1
		.amdhsa_reserve_flat_scratch 0
		.amdhsa_float_round_mode_32 0
		.amdhsa_float_round_mode_16_64 0
		.amdhsa_float_denorm_mode_32 3
		.amdhsa_float_denorm_mode_16_64 3
		.amdhsa_dx10_clamp 1
		.amdhsa_ieee_mode 1
		.amdhsa_fp16_overflow 0
		.amdhsa_exception_fp_ieee_invalid_op 0
		.amdhsa_exception_fp_denorm_src 0
		.amdhsa_exception_fp_ieee_div_zero 0
		.amdhsa_exception_fp_ieee_overflow 0
		.amdhsa_exception_fp_ieee_underflow 0
		.amdhsa_exception_fp_ieee_inexact 0
		.amdhsa_exception_int_div_zero 0
	.end_amdhsa_kernel
	.text
.Lfunc_end0:
	.size	fft_rtc_fwd_len336_factors_7_16_3_wgs_126_tpt_21_dim2_dp_op_CI_CI_sbcc_twdbase8_3step_dirReg_intrinsicReadWrite, .Lfunc_end0-fft_rtc_fwd_len336_factors_7_16_3_wgs_126_tpt_21_dim2_dp_op_CI_CI_sbcc_twdbase8_3step_dirReg_intrinsicReadWrite
                                        ; -- End function
	.section	.AMDGPU.csdata,"",@progbits
; Kernel info:
; codeLenInByte = 12040
; NumSgprs: 38
; NumVgprs: 127
; ScratchSize: 0
; MemoryBound: 0
; FloatMode: 240
; IeeeMode: 1
; LDSByteSize: 0 bytes/workgroup (compile time only)
; SGPRBlocks: 4
; VGPRBlocks: 31
; NumSGPRsForWavesPerEU: 38
; NumVGPRsForWavesPerEU: 127
; Occupancy: 2
; WaveLimiterHint : 0
; COMPUTE_PGM_RSRC2:SCRATCH_EN: 0
; COMPUTE_PGM_RSRC2:USER_SGPR: 6
; COMPUTE_PGM_RSRC2:TRAP_HANDLER: 0
; COMPUTE_PGM_RSRC2:TGID_X_EN: 1
; COMPUTE_PGM_RSRC2:TGID_Y_EN: 0
; COMPUTE_PGM_RSRC2:TGID_Z_EN: 0
; COMPUTE_PGM_RSRC2:TIDIG_COMP_CNT: 0
	.type	__hip_cuid_6e8b483f9ccdcf78,@object ; @__hip_cuid_6e8b483f9ccdcf78
	.section	.bss,"aw",@nobits
	.globl	__hip_cuid_6e8b483f9ccdcf78
__hip_cuid_6e8b483f9ccdcf78:
	.byte	0                               ; 0x0
	.size	__hip_cuid_6e8b483f9ccdcf78, 1

	.ident	"AMD clang version 19.0.0git (https://github.com/RadeonOpenCompute/llvm-project roc-6.4.0 25133 c7fe45cf4b819c5991fe208aaa96edf142730f1d)"
	.section	".note.GNU-stack","",@progbits
	.addrsig
	.addrsig_sym __hip_cuid_6e8b483f9ccdcf78
	.amdgpu_metadata
---
amdhsa.kernels:
  - .args:
      - .actual_access:  read_only
        .address_space:  global
        .offset:         0
        .size:           8
        .value_kind:     global_buffer
      - .address_space:  global
        .offset:         8
        .size:           8
        .value_kind:     global_buffer
      - .actual_access:  read_only
        .address_space:  global
        .offset:         16
        .size:           8
        .value_kind:     global_buffer
      - .actual_access:  read_only
        .address_space:  global
        .offset:         24
        .size:           8
        .value_kind:     global_buffer
      - .actual_access:  read_only
        .address_space:  global
        .offset:         32
        .size:           8
        .value_kind:     global_buffer
      - .offset:         40
        .size:           8
        .value_kind:     by_value
      - .actual_access:  read_only
        .address_space:  global
        .offset:         48
        .size:           8
        .value_kind:     global_buffer
      - .actual_access:  read_only
        .address_space:  global
        .offset:         56
        .size:           8
        .value_kind:     global_buffer
      - .offset:         64
        .size:           4
        .value_kind:     by_value
      - .actual_access:  read_only
        .address_space:  global
        .offset:         72
        .size:           8
        .value_kind:     global_buffer
      - .actual_access:  read_only
        .address_space:  global
        .offset:         80
        .size:           8
        .value_kind:     global_buffer
      - .address_space:  global
        .offset:         88
        .size:           8
        .value_kind:     global_buffer
      - .address_space:  global
        .offset:         96
        .size:           8
        .value_kind:     global_buffer
    .group_segment_fixed_size: 0
    .kernarg_segment_align: 8
    .kernarg_segment_size: 104
    .language:       OpenCL C
    .language_version:
      - 2
      - 0
    .max_flat_workgroup_size: 126
    .name:           fft_rtc_fwd_len336_factors_7_16_3_wgs_126_tpt_21_dim2_dp_op_CI_CI_sbcc_twdbase8_3step_dirReg_intrinsicReadWrite
    .private_segment_fixed_size: 0
    .sgpr_count:     38
    .sgpr_spill_count: 0
    .symbol:         fft_rtc_fwd_len336_factors_7_16_3_wgs_126_tpt_21_dim2_dp_op_CI_CI_sbcc_twdbase8_3step_dirReg_intrinsicReadWrite.kd
    .uniform_work_group_size: 1
    .uses_dynamic_stack: false
    .vgpr_count:     127
    .vgpr_spill_count: 0
    .wavefront_size: 64
amdhsa.target:   amdgcn-amd-amdhsa--gfx906
amdhsa.version:
  - 1
  - 2
...

	.end_amdgpu_metadata
